;; amdgpu-corpus repo=ROCm/rocFFT kind=compiled arch=gfx906 opt=O3
	.text
	.amdgcn_target "amdgcn-amd-amdhsa--gfx906"
	.amdhsa_code_object_version 6
	.protected	bluestein_single_fwd_len640_dim1_dp_op_CI_CI ; -- Begin function bluestein_single_fwd_len640_dim1_dp_op_CI_CI
	.globl	bluestein_single_fwd_len640_dim1_dp_op_CI_CI
	.p2align	8
	.type	bluestein_single_fwd_len640_dim1_dp_op_CI_CI,@function
bluestein_single_fwd_len640_dim1_dp_op_CI_CI: ; @bluestein_single_fwd_len640_dim1_dp_op_CI_CI
; %bb.0:
	s_load_dwordx4 s[12:15], s[4:5], 0x28
	v_lshrrev_b32_e32 v1, 6, v0
	v_mov_b32_e32 v150, 0
	v_lshl_or_b32 v191, s6, 1, v1
	v_mov_b32_e32 v192, v150
	s_waitcnt lgkmcnt(0)
	v_cmp_gt_u64_e32 vcc, s[12:13], v[191:192]
	s_and_saveexec_b64 s[0:1], vcc
	s_cbranch_execz .LBB0_23
; %bb.1:
	s_load_dwordx4 s[8:11], s[4:5], 0x18
	v_and_b32_e32 v203, 63, v0
	v_lshlrev_b32_e32 v205, 4, v203
	v_or_b32_e32 v9, 0x140, v203
	v_lshlrev_b32_e32 v206, 4, v9
	s_waitcnt lgkmcnt(0)
	s_load_dwordx4 s[0:3], s[8:9], 0x0
	v_and_b32_e32 v0, 64, v0
	v_mov_b32_e32 v71, 0x280
	v_or_b32_e32 v149, 64, v203
	s_waitcnt lgkmcnt(0)
	v_mad_u64_u32 v[1:2], s[6:7], s2, v191, 0
	v_mad_u64_u32 v[3:4], s[6:7], s0, v203, 0
	s_mul_i32 s6, s1, 0x50
	s_mul_hi_u32 s7, s0, 0x50
	v_mad_u64_u32 v[5:6], s[2:3], s3, v191, v[2:3]
	s_add_i32 s7, s7, s6
	s_mul_i32 s6, s0, 0x50
	v_mad_u64_u32 v[6:7], s[2:3], s1, v203, v[4:5]
	v_mov_b32_e32 v2, v5
	v_lshlrev_b64 v[1:2], 4, v[1:2]
	s_load_dwordx2 s[2:3], s[4:5], 0x0
	v_mov_b32_e32 v4, v6
	v_mov_b32_e32 v7, s15
	v_lshlrev_b64 v[3:4], 4, v[3:4]
	v_add_co_u32_e32 v1, vcc, s14, v1
	v_addc_co_u32_e32 v2, vcc, v7, v2, vcc
	v_add_co_u32_e32 v1, vcc, v1, v3
	v_addc_co_u32_e32 v2, vcc, v2, v4, vcc
	s_waitcnt lgkmcnt(0)
	v_mov_b32_e32 v3, s3
	v_add_co_u32_e32 v189, vcc, s2, v205
	v_addc_co_u32_e32 v190, vcc, 0, v3, vcc
	s_lshl_b64 s[12:13], s[6:7], 4
	global_load_dwordx4 v[39:42], v[1:2], off
	v_mov_b32_e32 v19, s13
	v_add_co_u32_e32 v1, vcc, s12, v1
	v_addc_co_u32_e32 v2, vcc, v2, v19, vcc
	v_add_co_u32_e32 v3, vcc, s12, v1
	v_addc_co_u32_e32 v4, vcc, v2, v19, vcc
	global_load_dwordx4 v[29:32], v205, s[2:3]
	global_load_dwordx4 v[25:28], v205, s[2:3] offset:1280
	global_load_dwordx4 v[43:46], v[1:2], off
	global_load_dwordx4 v[47:50], v[3:4], off
	v_add_co_u32_e32 v1, vcc, s12, v3
	v_addc_co_u32_e32 v2, vcc, v4, v19, vcc
	v_add_co_u32_e32 v3, vcc, s12, v1
	v_addc_co_u32_e32 v4, vcc, v2, v19, vcc
	global_load_dwordx4 v[21:24], v205, s[2:3] offset:2560
	global_load_dwordx4 v[5:8], v205, s[2:3] offset:3840
	global_load_dwordx4 v[51:54], v[1:2], off
	global_load_dwordx4 v[55:58], v[3:4], off
	v_add_co_u32_e32 v1, vcc, s12, v3
	v_addc_co_u32_e32 v2, vcc, v4, v19, vcc
	s_movk_i32 s6, 0x1000
	v_add_co_u32_e32 v33, vcc, s6, v189
	v_addc_co_u32_e32 v34, vcc, 0, v190, vcc
	v_add_co_u32_e32 v17, vcc, s12, v1
	global_load_dwordx4 v[9:12], v206, s[2:3]
	global_load_dwordx4 v[59:62], v[1:2], off
	v_addc_co_u32_e32 v18, vcc, v2, v19, vcc
	global_load_dwordx4 v[63:66], v[17:18], off
	global_load_dwordx4 v[13:16], v[33:34], off offset:2304
	global_load_dwordx4 v[1:4], v[33:34], off offset:3584
	v_add_co_u32_e32 v37, vcc, s12, v17
	v_addc_co_u32_e32 v38, vcc, v18, v19, vcc
	s_movk_i32 s6, 0x2000
	v_add_co_u32_e32 v35, vcc, s6, v189
	v_addc_co_u32_e32 v36, vcc, 0, v190, vcc
	global_load_dwordx4 v[17:20], v[35:36], off offset:768
	global_load_dwordx4 v[67:70], v[37:38], off
	v_cmp_ne_u32_e32 vcc, 0, v0
	v_cndmask_b32_e32 v204, 0, v71, vcc
	v_or_b32_e32 v0, v204, v203
	v_lshlrev_b32_e32 v0, 4, v0
	v_lshl_or_b32 v202, v204, 4, v205
	s_load_dwordx4 s[8:11], s[10:11], 0x0
	s_mov_b64 s[14:15], 0x50
	s_load_dwordx2 s[6:7], s[4:5], 0x38
	v_cmp_gt_u64_e32 vcc, s[14:15], v[149:150]
	s_waitcnt vmcnt(14)
	v_mul_f64 v[71:72], v[41:42], v[31:32]
	v_mul_f64 v[73:74], v[39:40], v[31:32]
	s_waitcnt vmcnt(12)
	v_mul_f64 v[75:76], v[45:46], v[27:28]
	v_mul_f64 v[77:78], v[43:44], v[27:28]
	v_fma_f64 v[39:40], v[39:40], v[29:30], v[71:72]
	v_fma_f64 v[41:42], v[41:42], v[29:30], -v[73:74]
	v_fma_f64 v[43:44], v[43:44], v[25:26], v[75:76]
	s_waitcnt vmcnt(8)
	v_mul_f64 v[83:84], v[53:54], v[7:8]
	v_mul_f64 v[79:80], v[49:50], v[23:24]
	v_mul_f64 v[81:82], v[47:48], v[23:24]
	v_mul_f64 v[71:72], v[51:52], v[7:8]
	v_fma_f64 v[45:46], v[45:46], v[25:26], -v[77:78]
	ds_write_b128 v0, v[39:42]
	v_fma_f64 v[39:40], v[51:52], v[5:6], v[83:84]
	v_fma_f64 v[47:48], v[47:48], v[21:22], v[79:80]
	v_fma_f64 v[49:50], v[49:50], v[21:22], -v[81:82]
	v_fma_f64 v[41:42], v[53:54], v[5:6], -v[71:72]
	ds_write_b128 v202, v[43:46] offset:1280
	ds_write_b128 v202, v[47:50] offset:2560
	;; [unrolled: 1-line block ×3, first 2 shown]
	s_waitcnt vmcnt(6)
	v_mul_f64 v[73:74], v[57:58], v[11:12]
	s_waitcnt vmcnt(3)
	v_mul_f64 v[75:76], v[61:62], v[15:16]
	v_mul_f64 v[85:86], v[55:56], v[11:12]
	;; [unrolled: 1-line block ×3, first 2 shown]
	s_waitcnt vmcnt(2)
	v_mul_f64 v[77:78], v[65:66], v[3:4]
	v_mul_f64 v[79:80], v[63:64], v[3:4]
	v_fma_f64 v[51:52], v[55:56], v[9:10], v[73:74]
	v_fma_f64 v[55:56], v[59:60], v[13:14], v[75:76]
	s_waitcnt vmcnt(0)
	v_mul_f64 v[73:74], v[69:70], v[19:20]
	v_mul_f64 v[75:76], v[67:68], v[19:20]
	v_fma_f64 v[53:54], v[57:58], v[9:10], -v[85:86]
	v_fma_f64 v[57:58], v[61:62], v[13:14], -v[71:72]
	v_fma_f64 v[59:60], v[63:64], v[1:2], v[77:78]
	v_fma_f64 v[61:62], v[65:66], v[1:2], -v[79:80]
	ds_write_b128 v202, v[51:54] offset:5120
	ds_write_b128 v202, v[55:58] offset:6400
	;; [unrolled: 1-line block ×3, first 2 shown]
	v_fma_f64 v[39:40], v[67:68], v[17:18], v[73:74]
	v_fma_f64 v[41:42], v[69:70], v[17:18], -v[75:76]
	ds_write_b128 v202, v[39:42] offset:8960
	s_and_saveexec_b64 s[14:15], vcc
	s_cbranch_execz .LBB0_3
; %bb.2:
	v_mov_b32_e32 v39, 0xffffe100
	v_mad_u64_u32 v[41:42], s[16:17], s0, v39, v[37:38]
	s_mulk_i32 s1, 0xe100
	s_sub_i32 s0, s1, s0
	v_add_u32_e32 v42, s0, v42
	v_mov_b32_e32 v95, s13
	v_add_co_u32_e64 v53, s[0:1], s12, v41
	v_addc_co_u32_e64 v54, s[0:1], v42, v95, s[0:1]
	v_add_co_u32_e64 v57, s[0:1], s12, v53
	v_addc_co_u32_e64 v58, s[0:1], v54, v95, s[0:1]
	;; [unrolled: 2-line block ×3, first 2 shown]
	global_load_dwordx4 v[37:40], v[41:42], off
	v_add_co_u32_e64 v77, s[0:1], s12, v69
	global_load_dwordx4 v[41:44], v[53:54], off
	global_load_dwordx4 v[45:48], v[189:190], off offset:1024
	global_load_dwordx4 v[49:52], v[189:190], off offset:2304
	v_addc_co_u32_e64 v78, s[0:1], v70, v95, s[0:1]
	global_load_dwordx4 v[53:56], v[57:58], off
	v_mov_b32_e32 v73, 0x1800
	v_add_co_u32_e64 v81, s[0:1], s12, v77
	global_load_dwordx4 v[57:60], v[69:70], off
	global_load_dwordx4 v[61:64], v[189:190], off offset:3584
	global_load_dwordx4 v[65:68], v[33:34], off offset:768
	v_lshl_or_b32 v73, v203, 4, v73
	v_addc_co_u32_e64 v82, s[0:1], v78, v95, s[0:1]
	global_load_dwordx4 v[69:72], v[77:78], off
	v_add_co_u32_e64 v93, s[0:1], s12, v81
	global_load_dwordx4 v[73:76], v73, s[2:3]
	v_addc_co_u32_e64 v94, s[0:1], v82, v95, s[0:1]
	global_load_dwordx4 v[77:80], v[81:82], off
	s_nop 0
	global_load_dwordx4 v[81:84], v[93:94], off
	global_load_dwordx4 v[85:88], v[33:34], off offset:3328
	global_load_dwordx4 v[89:92], v[35:36], off offset:512
	v_add_co_u32_e64 v33, s[0:1], s12, v93
	v_addc_co_u32_e64 v34, s[0:1], v94, v95, s[0:1]
	global_load_dwordx4 v[93:96], v[35:36], off offset:1792
	global_load_dwordx4 v[97:100], v[33:34], off
	s_waitcnt vmcnt(13)
	v_mul_f64 v[33:34], v[39:40], v[47:48]
	v_mul_f64 v[35:36], v[37:38], v[47:48]
	s_waitcnt vmcnt(12)
	v_mul_f64 v[47:48], v[43:44], v[51:52]
	v_mul_f64 v[51:52], v[41:42], v[51:52]
	;; [unrolled: 3-line block ×4, first 2 shown]
	v_fma_f64 v[33:34], v[37:38], v[45:46], v[33:34]
	v_fma_f64 v[35:36], v[39:40], v[45:46], -v[35:36]
	v_fma_f64 v[37:38], v[41:42], v[49:50], v[47:48]
	v_fma_f64 v[39:40], v[43:44], v[49:50], -v[51:52]
	s_waitcnt vmcnt(6)
	v_mul_f64 v[105:106], v[71:72], v[75:76]
	v_mul_f64 v[75:76], v[69:70], v[75:76]
	v_fma_f64 v[41:42], v[53:54], v[61:62], v[101:102]
	s_waitcnt vmcnt(3)
	v_mul_f64 v[107:108], v[79:80], v[87:88]
	v_mul_f64 v[87:88], v[77:78], v[87:88]
	s_waitcnt vmcnt(2)
	v_mul_f64 v[109:110], v[83:84], v[91:92]
	v_mul_f64 v[91:92], v[81:82], v[91:92]
	v_fma_f64 v[43:44], v[55:56], v[61:62], -v[63:64]
	v_fma_f64 v[45:46], v[57:58], v[65:66], v[103:104]
	s_waitcnt vmcnt(0)
	v_mul_f64 v[111:112], v[99:100], v[95:96]
	v_mul_f64 v[95:96], v[97:98], v[95:96]
	v_fma_f64 v[47:48], v[59:60], v[65:66], -v[67:68]
	v_fma_f64 v[49:50], v[69:70], v[73:74], v[105:106]
	v_fma_f64 v[51:52], v[71:72], v[73:74], -v[75:76]
	v_fma_f64 v[53:54], v[77:78], v[85:86], v[107:108]
	;; [unrolled: 2-line block ×4, first 2 shown]
	v_fma_f64 v[63:64], v[99:100], v[93:94], -v[95:96]
	ds_write_b128 v202, v[33:36] offset:1024
	ds_write_b128 v202, v[37:40] offset:2304
	;; [unrolled: 1-line block ×8, first 2 shown]
.LBB0_3:
	s_or_b64 exec, exec, s[14:15]
	s_waitcnt lgkmcnt(0)
	s_barrier
	ds_read_b128 v[77:80], v0
	ds_read_b128 v[65:68], v202 offset:1280
	ds_read_b128 v[73:76], v202 offset:2560
	;; [unrolled: 1-line block ×7, first 2 shown]
	s_load_dwordx2 s[4:5], s[4:5], 0x8
                                        ; implicit-def: $vgpr33_vgpr34
                                        ; implicit-def: $vgpr41_vgpr42
                                        ; implicit-def: $vgpr49_vgpr50
                                        ; implicit-def: $vgpr57_vgpr58
                                        ; implicit-def: $vgpr61_vgpr62
                                        ; implicit-def: $vgpr53_vgpr54
                                        ; implicit-def: $vgpr45_vgpr46
                                        ; implicit-def: $vgpr37_vgpr38
	s_and_saveexec_b64 s[0:1], vcc
	s_cbranch_execz .LBB0_5
; %bb.4:
	ds_read_b128 v[33:36], v202 offset:1024
	ds_read_b128 v[37:40], v202 offset:2304
	;; [unrolled: 1-line block ×8, first 2 shown]
.LBB0_5:
	s_or_b64 exec, exec, s[0:1]
	s_waitcnt lgkmcnt(0)
	v_add_f64 v[93:94], v[77:78], -v[93:94]
	v_add_f64 v[95:96], v[79:80], -v[95:96]
	;; [unrolled: 1-line block ×8, first 2 shown]
	v_fma_f64 v[77:78], v[77:78], 2.0, -v[93:94]
	v_fma_f64 v[79:80], v[79:80], 2.0, -v[95:96]
	;; [unrolled: 1-line block ×8, first 2 shown]
	v_add_f64 v[101:102], v[93:94], -v[91:92]
	v_add_f64 v[103:104], v[95:96], v[89:90]
	v_add_f64 v[83:84], v[85:86], -v[83:84]
	v_add_f64 v[81:82], v[87:88], v[81:82]
	v_add_f64 v[97:98], v[77:78], -v[73:74]
	v_add_f64 v[99:100], v[79:80], -v[75:76]
	;; [unrolled: 1-line block ×4, first 2 shown]
	v_fma_f64 v[89:90], v[93:94], 2.0, -v[101:102]
	v_fma_f64 v[91:92], v[95:96], 2.0, -v[103:104]
	;; [unrolled: 1-line block ×4, first 2 shown]
	s_mov_b32 s0, 0x667f3bcd
	s_mov_b32 s1, 0xbfe6a09e
	;; [unrolled: 1-line block ×4, first 2 shown]
	v_fma_f64 v[93:94], v[83:84], s[12:13], v[101:102]
	v_fma_f64 v[95:96], v[81:82], s[12:13], v[103:104]
	;; [unrolled: 1-line block ×4, first 2 shown]
	v_fma_f64 v[65:66], v[65:66], 2.0, -v[75:76]
	v_fma_f64 v[67:68], v[67:68], 2.0, -v[73:74]
	v_add_f64 v[73:74], v[97:98], -v[73:74]
	v_add_f64 v[75:76], v[99:100], v[75:76]
	v_fma_f64 v[81:82], v[81:82], s[0:1], v[93:94]
	v_fma_f64 v[83:84], v[83:84], s[12:13], v[95:96]
	;; [unrolled: 1-line block ×4, first 2 shown]
	v_add_f64 v[93:94], v[33:34], -v[53:54]
	v_add_f64 v[95:96], v[35:36], -v[55:56]
	;; [unrolled: 1-line block ×3, first 2 shown]
	v_fma_f64 v[77:78], v[77:78], 2.0, -v[97:98]
	v_fma_f64 v[79:80], v[79:80], 2.0, -v[99:100]
	v_add_f64 v[63:64], v[43:44], -v[63:64]
	v_fma_f64 v[85:86], v[89:90], 2.0, -v[69:70]
	v_fma_f64 v[87:88], v[91:92], 2.0, -v[71:72]
	;; [unrolled: 1-line block ×4, first 2 shown]
	v_add_f64 v[49:50], v[37:38], -v[49:50]
	v_add_f64 v[51:52], v[39:40], -v[51:52]
	v_fma_f64 v[97:98], v[33:34], 2.0, -v[93:94]
	v_fma_f64 v[99:100], v[35:36], 2.0, -v[95:96]
	v_add_f64 v[33:34], v[45:46], -v[57:58]
	v_add_f64 v[35:36], v[47:48], -v[59:60]
	v_fma_f64 v[41:42], v[41:42], 2.0, -v[61:62]
	v_fma_f64 v[53:54], v[101:102], 2.0, -v[81:82]
	;; [unrolled: 1-line block ×5, first 2 shown]
	v_add_f64 v[63:64], v[93:94], -v[63:64]
	v_add_f64 v[61:62], v[61:62], v[95:96]
	v_fma_f64 v[37:38], v[45:46], 2.0, -v[33:34]
	v_fma_f64 v[45:46], v[47:48], 2.0, -v[35:36]
	v_add_f64 v[47:48], v[49:50], -v[35:36]
	v_add_f64 v[101:102], v[33:34], v[51:52]
	v_add_f64 v[41:42], v[97:98], -v[41:42]
	v_add_f64 v[43:44], v[99:100], -v[43:44]
	v_fma_f64 v[33:34], v[93:94], 2.0, -v[63:64]
	v_fma_f64 v[39:40], v[95:96], 2.0, -v[61:62]
	v_add_f64 v[93:94], v[57:58], -v[37:38]
	v_add_f64 v[45:46], v[59:60], -v[45:46]
	v_fma_f64 v[49:50], v[49:50], 2.0, -v[47:48]
	v_fma_f64 v[51:52], v[51:52], 2.0, -v[101:102]
	;; [unrolled: 1-line block ×3, first 2 shown]
	v_fma_f64 v[95:96], v[47:48], s[12:13], v[63:64]
	v_fma_f64 v[97:98], v[101:102], s[12:13], v[61:62]
	v_add_f64 v[65:66], v[77:78], -v[65:66]
	v_add_f64 v[67:68], v[79:80], -v[67:68]
	v_fma_f64 v[55:56], v[103:104], 2.0, -v[83:84]
	v_fma_f64 v[37:38], v[99:100], 2.0, -v[43:44]
	;; [unrolled: 1-line block ×4, first 2 shown]
	v_fma_f64 v[99:100], v[49:50], s[0:1], v[33:34]
	v_fma_f64 v[103:104], v[51:52], s[0:1], v[39:40]
	v_add_f64 v[129:130], v[41:42], -v[45:46]
	v_add_f64 v[131:132], v[43:44], v[93:94]
	v_fma_f64 v[133:134], v[101:102], s[0:1], v[95:96]
	v_fma_f64 v[135:136], v[47:48], s[12:13], v[97:98]
	v_fma_f64 v[77:78], v[77:78], 2.0, -v[65:66]
	v_fma_f64 v[79:80], v[79:80], 2.0, -v[67:68]
	v_add_f64 v[121:122], v[35:36], -v[57:58]
	v_add_f64 v[123:124], v[37:38], -v[59:60]
	v_fma_f64 v[125:126], v[51:52], s[0:1], v[99:100]
	v_fma_f64 v[127:128], v[49:50], s[12:13], v[103:104]
	v_fma_f64 v[113:114], v[41:42], 2.0, -v[129:130]
	v_fma_f64 v[115:116], v[43:44], 2.0, -v[131:132]
	;; [unrolled: 1-line block ×4, first 2 shown]
	v_lshlrev_b32_e32 v41, 3, v203
	v_add_lshl_u32 v207, v204, v41, 4
	v_lshlrev_b32_e32 v208, 3, v149
	s_barrier
	ds_write_b128 v207, v[77:80]
	ds_write_b128 v207, v[85:88] offset:16
	ds_write_b128 v207, v[89:92] offset:32
	;; [unrolled: 1-line block ×7, first 2 shown]
	s_and_saveexec_b64 s[0:1], vcc
	s_cbranch_execz .LBB0_7
; %bb.6:
	v_fma_f64 v[43:44], v[37:38], 2.0, -v[123:124]
	v_fma_f64 v[41:42], v[35:36], 2.0, -v[121:122]
	;; [unrolled: 1-line block ×4, first 2 shown]
	v_add_lshl_u32 v33, v204, v208, 4
	ds_write_b128 v33, v[113:116] offset:32
	ds_write_b128 v33, v[117:120] offset:48
	ds_write_b128 v33, v[41:44]
	ds_write_b128 v33, v[37:40] offset:16
	ds_write_b128 v33, v[121:124] offset:64
	;; [unrolled: 1-line block ×5, first 2 shown]
.LBB0_7:
	s_or_b64 exec, exec, s[0:1]
	v_mov_b32_e32 v34, s5
	v_and_b32_e32 v57, 7, v203
	s_movk_i32 s0, 0x90
	v_mov_b32_e32 v33, s4
	v_mad_u64_u32 v[58:59], s[0:1], v57, s0, v[33:34]
	s_waitcnt lgkmcnt(0)
	s_barrier
	global_load_dwordx4 v[49:52], v[58:59], off
	global_load_dwordx4 v[41:44], v[58:59], off offset:16
	global_load_dwordx4 v[37:40], v[58:59], off offset:32
	;; [unrolled: 1-line block ×8, first 2 shown]
	ds_read_b128 v[69:72], v0
	ds_read_b128 v[73:76], v202 offset:1024
	ds_read_b128 v[77:80], v202 offset:2048
	ds_read_b128 v[81:84], v202 offset:3072
	ds_read_b128 v[85:88], v202 offset:4096
	ds_read_b128 v[89:92], v202 offset:5120
	ds_read_b128 v[97:100], v202 offset:6144
	ds_read_b128 v[101:104], v202 offset:7168
	ds_read_b128 v[105:108], v202 offset:8192
	ds_read_b128 v[109:112], v202 offset:9216
	s_mov_b32 s0, 0x134454ff
	s_mov_b32 s1, 0x3fee6f0e
	;; [unrolled: 1-line block ×12, first 2 shown]
	s_waitcnt vmcnt(0) lgkmcnt(0)
	s_barrier
	v_mul_f64 v[58:59], v[75:76], v[51:52]
	v_mul_f64 v[137:138], v[73:74], v[51:52]
	;; [unrolled: 1-line block ×17, first 2 shown]
	v_fma_f64 v[58:59], v[73:74], v[49:50], -v[58:59]
	v_fma_f64 v[73:74], v[75:76], v[49:50], v[137:138]
	v_fma_f64 v[75:76], v[77:78], v[41:42], -v[139:140]
	v_fma_f64 v[77:78], v[79:80], v[41:42], v[141:142]
	;; [unrolled: 2-line block ×6, first 2 shown]
	v_fma_f64 v[105:106], v[105:106], v[61:62], -v[164:165]
	v_mul_f64 v[162:163], v[101:102], v[47:48]
	v_fma_f64 v[99:100], v[107:108], v[61:62], v[166:167]
	v_fma_f64 v[101:102], v[101:102], v[45:46], -v[160:161]
	v_fma_f64 v[107:108], v[109:110], v[93:94], -v[168:169]
	v_fma_f64 v[109:110], v[111:112], v[93:94], v[170:171]
	v_add_f64 v[111:112], v[69:70], v[75:76]
	v_add_f64 v[137:138], v[83:84], v[91:92]
	;; [unrolled: 1-line block ×5, first 2 shown]
	v_add_f64 v[139:140], v[77:78], -v[99:100]
	v_add_f64 v[141:142], v[85:86], -v[97:98]
	;; [unrolled: 1-line block ×9, first 2 shown]
	v_add_f64 v[164:165], v[77:78], v[99:100]
	v_add_f64 v[77:78], v[85:86], -v[77:78]
	v_add_f64 v[170:171], v[87:88], v[101:102]
	v_add_f64 v[83:84], v[111:112], v[83:84]
	;; [unrolled: 1-line block ×3, first 2 shown]
	v_fma_f64 v[137:138], v[137:138], -0.5, v[69:70]
	v_fma_f64 v[69:70], v[147:148], -0.5, v[69:70]
	;; [unrolled: 1-line block ×3, first 2 shown]
	v_fma_f64 v[103:104], v[103:104], v[45:46], v[162:163]
	v_add_f64 v[162:163], v[99:100], -v[97:98]
	v_add_f64 v[166:167], v[97:98], -v[99:100]
	v_add_f64 v[168:169], v[58:59], v[79:80]
	v_add_f64 v[172:173], v[81:82], -v[109:110]
	v_add_f64 v[111:112], v[143:144], v[145:146]
	v_add_f64 v[143:144], v[150:151], v[152:153]
	v_fma_f64 v[71:72], v[164:165], -0.5, v[71:72]
	v_fma_f64 v[152:153], v[170:171], -0.5, v[58:59]
	v_add_f64 v[83:84], v[83:84], v[91:92]
	v_fma_f64 v[91:92], v[139:140], s[0:1], v[137:138]
	v_fma_f64 v[137:138], v[139:140], s[16:17], v[137:138]
	;; [unrolled: 1-line block ×4, first 2 shown]
	v_add_f64 v[85:86], v[85:86], v[97:98]
	v_fma_f64 v[97:98], v[75:76], s[16:17], v[147:148]
	v_fma_f64 v[147:148], v[75:76], s[0:1], v[147:148]
	v_add_f64 v[174:175], v[89:90], -v[103:104]
	v_add_f64 v[176:177], v[79:80], -v[87:88]
	;; [unrolled: 1-line block ×3, first 2 shown]
	v_add_f64 v[180:181], v[79:80], v[107:108]
	v_add_f64 v[145:146], v[160:161], v[162:163]
	;; [unrolled: 1-line block ×3, first 2 shown]
	v_fma_f64 v[156:157], v[158:159], s[0:1], v[71:72]
	v_fma_f64 v[71:72], v[158:159], s[16:17], v[71:72]
	;; [unrolled: 1-line block ×3, first 2 shown]
	v_add_f64 v[105:106], v[83:84], v[105:106]
	v_fma_f64 v[83:84], v[141:142], s[12:13], v[91:92]
	v_fma_f64 v[91:92], v[141:142], s[18:19], v[137:138]
	;; [unrolled: 1-line block ×4, first 2 shown]
	v_add_f64 v[99:100], v[85:86], v[99:100]
	v_fma_f64 v[85:86], v[158:159], s[12:13], v[147:148]
	v_fma_f64 v[97:98], v[158:159], s[18:19], v[97:98]
	;; [unrolled: 1-line block ×7, first 2 shown]
	v_add_f64 v[69:70], v[77:78], v[166:167]
	v_fma_f64 v[147:148], v[145:146], s[14:15], v[85:86]
	v_fma_f64 v[58:59], v[180:181], -0.5, v[58:59]
	v_fma_f64 v[71:72], v[75:76], s[12:13], v[71:72]
	v_add_f64 v[75:76], v[150:151], v[101:102]
	v_fma_f64 v[77:78], v[174:175], s[12:13], v[160:161]
	v_add_f64 v[83:84], v[176:177], v[178:179]
	v_add_f64 v[85:86], v[89:90], v[103:104]
	v_fma_f64 v[143:144], v[145:146], s[14:15], v[97:98]
	v_fma_f64 v[139:140], v[69:70], s[14:15], v[139:140]
	;; [unrolled: 1-line block ×5, first 2 shown]
	v_add_f64 v[152:153], v[75:76], v[107:108]
	v_add_f64 v[69:70], v[81:82], v[109:110]
	v_fma_f64 v[71:72], v[83:84], s[14:15], v[77:78]
	v_fma_f64 v[75:76], v[85:86], -0.5, v[73:74]
	v_add_f64 v[77:78], v[79:80], -v[107:108]
	v_fma_f64 v[85:86], v[174:175], s[18:19], v[97:98]
	v_fma_f64 v[97:98], v[172:173], s[12:13], v[145:146]
	v_add_f64 v[145:146], v[73:74], v[81:82]
	v_add_f64 v[154:155], v[87:88], -v[101:102]
	v_fma_f64 v[69:70], v[69:70], -0.5, v[73:74]
	v_add_f64 v[73:74], v[87:88], -v[79:80]
	v_add_f64 v[79:80], v[101:102], -v[107:108]
	v_fma_f64 v[87:88], v[77:78], s[16:17], v[75:76]
	v_add_f64 v[101:102], v[81:82], -v[89:90]
	v_add_f64 v[107:108], v[109:110], -v[103:104]
	v_fma_f64 v[58:59], v[174:175], s[0:1], v[58:59]
	v_fma_f64 v[75:76], v[77:78], s[0:1], v[75:76]
	v_add_f64 v[145:146], v[145:146], v[89:90]
	v_fma_f64 v[156:157], v[154:155], s[0:1], v[69:70]
	v_add_f64 v[81:82], v[89:90], -v[81:82]
	v_fma_f64 v[87:88], v[154:155], s[18:19], v[87:88]
	v_add_f64 v[89:90], v[103:104], -v[109:110]
	v_add_f64 v[101:102], v[101:102], v[107:108]
	v_fma_f64 v[69:70], v[154:155], s[16:17], v[69:70]
	v_add_f64 v[73:74], v[73:74], v[79:80]
	v_fma_f64 v[58:59], v[172:173], s[18:19], v[58:59]
	v_fma_f64 v[75:76], v[154:155], s[12:13], v[75:76]
	;; [unrolled: 1-line block ×3, first 2 shown]
	v_add_f64 v[81:82], v[81:82], v[89:90]
	v_fma_f64 v[87:88], v[101:102], s[14:15], v[87:88]
	v_fma_f64 v[69:70], v[77:78], s[12:13], v[69:70]
	;; [unrolled: 1-line block ×6, first 2 shown]
	v_add_f64 v[89:90], v[145:146], v[103:104]
	v_fma_f64 v[79:80], v[81:82], s[14:15], v[79:80]
	v_mul_f64 v[75:76], v[87:88], s[12:13]
	v_fma_f64 v[81:82], v[81:82], s[14:15], v[69:70]
	v_mul_f64 v[97:98], v[77:78], s[20:21]
	v_add_f64 v[69:70], v[105:106], v[152:153]
	v_add_f64 v[103:104], v[89:90], v[109:110]
	v_mul_f64 v[85:86], v[79:80], s[0:1]
	v_fma_f64 v[101:102], v[71:72], s[20:21], v[75:76]
	v_mul_f64 v[71:72], v[71:72], s[18:19]
	v_mul_f64 v[75:76], v[83:84], s[16:17]
	;; [unrolled: 1-line block ×5, first 2 shown]
	v_fma_f64 v[156:157], v[73:74], s[12:13], -v[97:98]
	v_fma_f64 v[145:146], v[83:84], s[14:15], v[85:86]
	v_add_f64 v[73:74], v[141:142], v[101:102]
	v_fma_f64 v[158:159], v[87:88], s[20:21], v[71:72]
	v_fma_f64 v[160:161], v[79:80], s[14:15], v[75:76]
	v_fma_f64 v[154:155], v[81:82], s[0:1], -v[89:90]
	v_fma_f64 v[58:59], v[58:59], s[16:17], -v[107:108]
	;; [unrolled: 1-line block ×3, first 2 shown]
	v_add_f64 v[71:72], v[99:100], v[103:104]
	v_add_f64 v[77:78], v[111:112], v[145:146]
	;; [unrolled: 1-line block ×8, first 2 shown]
	v_add_f64 v[97:98], v[141:142], -v[101:102]
	v_add_f64 v[101:102], v[111:112], -v[145:146]
	;; [unrolled: 1-line block ×6, first 2 shown]
	v_lshrrev_b32_e32 v58, 3, v203
	v_add_f64 v[89:90], v[105:106], -v[152:153]
	v_mul_u32_u24_e32 v58, 0x50, v58
	v_add_f64 v[99:100], v[143:144], -v[158:159]
	v_or_b32_e32 v57, v58, v57
	v_add_lshl_u32 v209, v204, v57, 4
	v_add_f64 v[137:138], v[137:138], -v[154:155]
	v_add_f64 v[147:148], v[147:148], -v[107:108]
	ds_write_b128 v209, v[69:72]
	ds_write_b128 v209, v[73:76] offset:128
	ds_write_b128 v209, v[77:80] offset:256
	;; [unrolled: 1-line block ×9, first 2 shown]
	s_waitcnt lgkmcnt(0)
	s_barrier
	ds_read_b128 v[141:144], v0
	ds_read_b128 v[109:112], v202 offset:1280
	ds_read_b128 v[77:80], v202 offset:2560
	;; [unrolled: 1-line block ×7, first 2 shown]
	s_and_saveexec_b64 s[0:1], vcc
	s_cbranch_execz .LBB0_9
; %bb.8:
	ds_read_b128 v[137:140], v202 offset:1024
	ds_read_b128 v[145:148], v202 offset:2304
	;; [unrolled: 1-line block ×8, first 2 shown]
.LBB0_9:
	s_or_b64 exec, exec, s[0:1]
	v_mov_b32_e32 v58, s5
	s_movk_i32 s0, 0x70
	v_mov_b32_e32 v57, s4
	v_mad_u64_u32 v[150:151], s[0:1], v203, s0, v[57:58]
	global_load_dwordx4 v[57:60], v[150:151], off offset:1200
	global_load_dwordx4 v[81:84], v[150:151], off offset:1184
	;; [unrolled: 1-line block ×4, first 2 shown]
	s_waitcnt vmcnt(0) lgkmcnt(6)
	v_mul_f64 v[152:153], v[111:112], v[91:92]
	v_fma_f64 v[157:158], v[109:110], v[89:90], -v[152:153]
	v_mul_f64 v[109:110], v[109:110], v[91:92]
	v_fma_f64 v[159:160], v[111:112], v[89:90], v[109:110]
	s_waitcnt lgkmcnt(5)
	v_mul_f64 v[109:110], v[79:80], v[87:88]
	v_fma_f64 v[161:162], v[77:78], v[85:86], -v[109:110]
	v_mul_f64 v[77:78], v[77:78], v[87:88]
	v_fma_f64 v[163:164], v[79:80], v[85:86], v[77:78]
	s_waitcnt lgkmcnt(4)
	;; [unrolled: 5-line block ×3, first 2 shown]
	v_mul_f64 v[73:74], v[71:72], v[59:60]
	v_fma_f64 v[169:170], v[69:70], v[57:58], -v[73:74]
	v_mul_f64 v[69:70], v[69:70], v[59:60]
	v_fma_f64 v[171:172], v[71:72], v[57:58], v[69:70]
	global_load_dwordx4 v[69:72], v[150:151], off offset:1248
	global_load_dwordx4 v[77:80], v[150:151], off offset:1232
	;; [unrolled: 1-line block ×3, first 2 shown]
	s_waitcnt vmcnt(0) lgkmcnt(2)
	v_mul_f64 v[109:110], v[107:108], v[75:76]
	v_fma_f64 v[173:174], v[105:106], v[73:74], -v[109:110]
	v_mul_f64 v[105:106], v[105:106], v[75:76]
	v_fma_f64 v[175:176], v[107:108], v[73:74], v[105:106]
	s_waitcnt lgkmcnt(1)
	v_mul_f64 v[105:106], v[103:104], v[79:80]
	v_fma_f64 v[177:178], v[101:102], v[77:78], -v[105:106]
	v_mul_f64 v[101:102], v[101:102], v[79:80]
	v_fma_f64 v[179:180], v[103:104], v[77:78], v[101:102]
	s_waitcnt lgkmcnt(0)
	v_mul_f64 v[101:102], v[99:100], v[71:72]
	v_fma_f64 v[181:182], v[97:98], v[69:70], -v[101:102]
	v_mul_f64 v[97:98], v[97:98], v[71:72]
	v_fma_f64 v[183:184], v[99:100], v[69:70], v[97:98]
	v_add_u32_e32 v97, -16, v203
	v_cndmask_b32_e32 v97, v97, v149, vcc
	v_mul_hi_i32_i24_e32 v98, 0x70, v97
	v_mul_i32_i24_e32 v97, 0x70, v97
	v_add_co_u32_e64 v185, s[0:1], s4, v97
	v_mov_b32_e32 v97, s5
	v_addc_co_u32_e64 v186, s[0:1], v97, v98, s[0:1]
	global_load_dwordx4 v[97:100], v[185:186], off offset:1200
	global_load_dwordx4 v[101:104], v[185:186], off offset:1184
	;; [unrolled: 1-line block ×4, first 2 shown]
	s_mov_b32 s0, 0x667f3bcd
	s_mov_b32 s1, 0xbfe6a09e
	;; [unrolled: 1-line block ×4, first 2 shown]
	s_waitcnt vmcnt(0)
	v_mul_f64 v[149:150], v[147:148], v[111:112]
	v_fma_f64 v[149:150], v[145:146], v[109:110], -v[149:150]
	v_mul_f64 v[145:146], v[145:146], v[111:112]
	v_fma_f64 v[151:152], v[147:148], v[109:110], v[145:146]
	v_mul_f64 v[145:146], v[115:116], v[107:108]
	v_fma_f64 v[153:154], v[113:114], v[105:106], -v[145:146]
	v_mul_f64 v[113:114], v[113:114], v[107:108]
	v_fma_f64 v[155:156], v[115:116], v[105:106], v[113:114]
	;; [unrolled: 4-line block ×4, first 2 shown]
	global_load_dwordx4 v[113:116], v[185:186], off offset:1248
	global_load_dwordx4 v[117:120], v[185:186], off offset:1232
	;; [unrolled: 1-line block ×3, first 2 shown]
	s_waitcnt vmcnt(0)
	v_mul_f64 v[185:186], v[127:128], v[123:124]
	v_fma_f64 v[198:199], v[125:126], v[121:122], -v[185:186]
	v_mul_f64 v[125:126], v[125:126], v[123:124]
	v_fma_f64 v[196:197], v[127:128], v[121:122], v[125:126]
	v_mul_f64 v[125:126], v[131:132], v[119:120]
	v_mul_f64 v[127:128], v[133:134], v[115:116]
	v_fma_f64 v[200:201], v[129:130], v[117:118], -v[125:126]
	v_mul_f64 v[125:126], v[129:130], v[119:120]
	v_fma_f64 v[127:128], v[135:136], v[113:114], v[127:128]
	v_fma_f64 v[129:130], v[131:132], v[117:118], v[125:126]
	v_mul_f64 v[125:126], v[135:136], v[115:116]
	v_add_f64 v[131:132], v[141:142], -v[169:170]
	v_add_f64 v[169:170], v[163:164], -v[179:180]
	;; [unrolled: 1-line block ×4, first 2 shown]
	v_fma_f64 v[125:126], v[133:134], v[113:114], -v[125:126]
	v_add_f64 v[133:134], v[143:144], -v[171:172]
	v_fma_f64 v[135:136], v[141:142], 2.0, -v[131:132]
	v_add_f64 v[171:172], v[157:158], -v[173:174]
	v_add_f64 v[173:174], v[159:160], -v[175:176]
	;; [unrolled: 1-line block ×3, first 2 shown]
	v_fma_f64 v[163:164], v[163:164], 2.0, -v[169:170]
	v_fma_f64 v[147:148], v[147:148], 2.0, -v[127:128]
	v_add_f64 v[125:126], v[145:146], -v[125:126]
	v_fma_f64 v[141:142], v[143:144], 2.0, -v[133:134]
	v_add_f64 v[143:144], v[161:162], -v[177:178]
	v_add_f64 v[177:178], v[167:168], -v[183:184]
	v_fma_f64 v[157:158], v[157:158], 2.0, -v[171:172]
	v_fma_f64 v[159:160], v[159:160], 2.0, -v[173:174]
	;; [unrolled: 1-line block ×3, first 2 shown]
	v_add_f64 v[183:184], v[131:132], -v[169:170]
	v_add_f64 v[175:176], v[173:174], v[175:176]
	v_add_f64 v[181:182], v[141:142], -v[163:164]
	v_fma_f64 v[161:162], v[161:162], 2.0, -v[143:144]
	v_fma_f64 v[167:168], v[167:168], 2.0, -v[177:178]
	v_add_f64 v[143:144], v[133:134], v[143:144]
	v_add_f64 v[212:213], v[171:172], -v[177:178]
	v_add_f64 v[210:211], v[157:158], -v[165:166]
	v_fma_f64 v[131:132], v[131:132], 2.0, -v[183:184]
	v_fma_f64 v[165:166], v[173:174], 2.0, -v[175:176]
	;; [unrolled: 1-line block ×3, first 2 shown]
	v_add_f64 v[179:180], v[135:136], -v[161:162]
	v_add_f64 v[169:170], v[159:160], -v[167:168]
	v_fma_f64 v[133:134], v[133:134], 2.0, -v[143:144]
	v_fma_f64 v[167:168], v[171:172], 2.0, -v[212:213]
	;; [unrolled: 1-line block ×3, first 2 shown]
	v_add_f64 v[171:172], v[181:182], v[210:211]
	v_fma_f64 v[145:146], v[145:146], 2.0, -v[125:126]
	v_fma_f64 v[135:136], v[135:136], 2.0, -v[179:180]
	;; [unrolled: 1-line block ×3, first 2 shown]
	v_add_f64 v[169:170], v[179:180], -v[169:170]
	v_add_f64 v[157:158], v[135:136], -v[157:158]
	;; [unrolled: 1-line block ×3, first 2 shown]
	v_fma_f64 v[177:178], v[179:180], 2.0, -v[169:170]
	v_fma_f64 v[179:180], v[181:182], 2.0, -v[171:172]
	v_fma_f64 v[161:162], v[135:136], 2.0, -v[157:158]
	v_fma_f64 v[163:164], v[141:142], 2.0, -v[159:160]
	v_fma_f64 v[135:136], v[167:168], s[0:1], v[131:132]
	v_fma_f64 v[141:142], v[165:166], s[0:1], v[133:134]
	;; [unrolled: 1-line block ×4, first 2 shown]
	v_fma_f64 v[185:186], v[131:132], 2.0, -v[165:166]
	v_fma_f64 v[187:188], v[133:134], 2.0, -v[167:168]
	v_fma_f64 v[131:132], v[212:213], s[4:5], v[183:184]
	v_fma_f64 v[133:134], v[175:176], s[4:5], v[143:144]
	;; [unrolled: 1-line block ×4, first 2 shown]
	v_add_f64 v[131:132], v[137:138], -v[192:193]
	v_add_f64 v[133:134], v[139:140], -v[194:195]
	v_fma_f64 v[181:182], v[183:184], 2.0, -v[173:174]
	v_fma_f64 v[183:184], v[143:144], 2.0, -v[175:176]
	;; [unrolled: 1-line block ×4, first 2 shown]
	v_add_f64 v[139:140], v[153:154], -v[200:201]
	v_fma_f64 v[143:144], v[155:156], 2.0, -v[129:130]
	v_add_f64 v[155:156], v[151:152], -v[196:197]
	v_add_f64 v[196:197], v[131:132], -v[129:130]
	ds_write_b128 v0, v[161:164]
	ds_write_b128 v202, v[185:188] offset:1280
	ds_write_b128 v202, v[177:180] offset:2560
	;; [unrolled: 1-line block ×7, first 2 shown]
	v_fma_f64 v[141:142], v[153:154], 2.0, -v[139:140]
	v_add_f64 v[153:154], v[149:150], -v[198:199]
	v_fma_f64 v[151:152], v[151:152], 2.0, -v[155:156]
	v_add_f64 v[198:199], v[133:134], v[139:140]
	v_add_f64 v[194:195], v[137:138], -v[143:144]
	v_fma_f64 v[129:130], v[131:132], 2.0, -v[196:197]
	v_add_f64 v[192:193], v[135:136], -v[141:142]
	v_fma_f64 v[149:150], v[149:150], 2.0, -v[153:154]
	v_fma_f64 v[131:132], v[133:134], 2.0, -v[198:199]
	;; [unrolled: 1-line block ×4, first 2 shown]
	v_add_f64 v[139:140], v[149:150], -v[145:146]
	v_add_f64 v[145:146], v[151:152], -v[147:148]
	v_fma_f64 v[133:134], v[149:150], 2.0, -v[139:140]
	v_fma_f64 v[135:136], v[151:152], 2.0, -v[145:146]
	v_add_f64 v[151:152], v[155:156], v[125:126]
	v_add_f64 v[149:150], v[153:154], -v[127:128]
	v_add_f64 v[145:146], v[192:193], -v[145:146]
	v_add_f64 v[133:134], v[141:142], -v[133:134]
	v_add_f64 v[135:136], v[137:138], -v[135:136]
	v_fma_f64 v[147:148], v[155:156], 2.0, -v[151:152]
	v_fma_f64 v[143:144], v[153:154], 2.0, -v[149:150]
	v_fma_f64 v[155:156], v[151:152], s[4:5], v[198:199]
	v_fma_f64 v[125:126], v[141:142], 2.0, -v[133:134]
	v_fma_f64 v[127:128], v[137:138], 2.0, -v[135:136]
	v_fma_f64 v[153:154], v[147:148], s[0:1], v[131:132]
	v_fma_f64 v[137:138], v[143:144], s[0:1], v[129:130]
	;; [unrolled: 1-line block ×6, first 2 shown]
	v_add_f64 v[147:148], v[194:195], v[139:140]
	v_fma_f64 v[137:138], v[192:193], 2.0, -v[145:146]
	v_fma_f64 v[131:132], v[131:132], 2.0, -v[143:144]
	v_fma_f64 v[153:154], v[151:152], s[0:1], v[153:154]
	v_fma_f64 v[129:130], v[129:130], 2.0, -v[141:142]
	v_fma_f64 v[139:140], v[194:195], 2.0, -v[147:148]
	;; [unrolled: 1-line block ×4, first 2 shown]
	s_and_saveexec_b64 s[0:1], vcc
	s_cbranch_execz .LBB0_11
; %bb.10:
	ds_write_b128 v202, v[125:128] offset:1024
	ds_write_b128 v202, v[129:132] offset:2304
	;; [unrolled: 1-line block ×8, first 2 shown]
.LBB0_11:
	s_or_b64 exec, exec, s[0:1]
	s_add_u32 s4, s2, 0x2800
	s_addc_u32 s5, s3, 0
	s_waitcnt lgkmcnt(0)
	s_barrier
	global_load_dwordx4 v[163:166], v205, s[4:5]
	v_mov_b32_e32 v157, s5
	v_add_co_u32_e64 v161, s[0:1], s4, v205
	s_movk_i32 s12, 0x1000
	v_addc_co_u32_e64 v162, s[0:1], 0, v157, s[0:1]
	global_load_dwordx4 v[167:170], v205, s[4:5] offset:1280
	global_load_dwordx4 v[171:174], v205, s[4:5] offset:2560
	;; [unrolled: 1-line block ×3, first 2 shown]
	v_add_co_u32_e64 v159, s[0:1], s12, v161
	s_movk_i32 s13, 0x2000
	v_addc_co_u32_e64 v160, s[0:1], 0, v162, s[0:1]
	v_add_co_u32_e64 v157, s[0:1], s13, v161
	global_load_dwordx4 v[179:182], v206, s[4:5]
	global_load_dwordx4 v[183:186], v[159:160], off offset:2304
	global_load_dwordx4 v[192:195], v[159:160], off offset:3584
	v_addc_co_u32_e64 v158, s[0:1], 0, v162, s[0:1]
	global_load_dwordx4 v[196:199], v[157:158], off offset:768
	ds_read_b128 v[210:213], v0
	s_waitcnt vmcnt(7) lgkmcnt(0)
	v_mul_f64 v[187:188], v[212:213], v[165:166]
	v_mul_f64 v[165:166], v[210:211], v[165:166]
	v_fma_f64 v[210:211], v[210:211], v[163:164], -v[187:188]
	v_fma_f64 v[212:213], v[212:213], v[163:164], v[165:166]
	ds_write_b128 v0, v[210:213]
	ds_read_b128 v[163:166], v202 offset:1280
	ds_read_b128 v[210:213], v202 offset:2560
	ds_read_b128 v[214:217], v202 offset:3840
	ds_read_b128 v[218:221], v202 offset:5120
	ds_read_b128 v[222:225], v202 offset:6400
	ds_read_b128 v[226:229], v202 offset:7680
	ds_read_b128 v[230:233], v202 offset:8960
	s_waitcnt vmcnt(6) lgkmcnt(6)
	v_mul_f64 v[187:188], v[165:166], v[169:170]
	v_mul_f64 v[169:170], v[163:164], v[169:170]
	s_waitcnt vmcnt(5) lgkmcnt(5)
	v_mul_f64 v[200:201], v[212:213], v[173:174]
	v_mul_f64 v[173:174], v[210:211], v[173:174]
	;; [unrolled: 3-line block ×7, first 2 shown]
	v_fma_f64 v[163:164], v[163:164], v[167:168], -v[187:188]
	v_fma_f64 v[165:166], v[165:166], v[167:168], v[169:170]
	v_fma_f64 v[167:168], v[210:211], v[171:172], -v[200:201]
	v_fma_f64 v[169:170], v[212:213], v[171:172], v[173:174]
	v_fma_f64 v[171:172], v[214:215], v[175:176], -v[205:206]
	v_fma_f64 v[173:174], v[216:217], v[175:176], v[177:178]
	v_fma_f64 v[175:176], v[218:219], v[179:180], -v[234:235]
	v_fma_f64 v[177:178], v[220:221], v[179:180], v[181:182]
	v_fma_f64 v[179:180], v[222:223], v[183:184], -v[236:237]
	v_fma_f64 v[181:182], v[224:225], v[183:184], v[185:186]
	v_fma_f64 v[183:184], v[226:227], v[192:193], -v[238:239]
	v_fma_f64 v[185:186], v[228:229], v[192:193], v[194:195]
	v_fma_f64 v[192:193], v[230:231], v[196:197], -v[240:241]
	v_fma_f64 v[194:195], v[232:233], v[196:197], v[198:199]
	v_or_b32_e32 v187, 0x180, v203
	ds_write_b128 v202, v[163:166] offset:1280
	ds_write_b128 v202, v[167:170] offset:2560
	;; [unrolled: 1-line block ×7, first 2 shown]
	v_lshlrev_b32_e32 v192, 4, v187
	s_and_saveexec_b64 s[0:1], vcc
	s_cbranch_execz .LBB0_13
; %bb.12:
	global_load_dwordx4 v[163:166], v[161:162], off offset:1024
	global_load_dwordx4 v[167:170], v[161:162], off offset:2304
	;; [unrolled: 1-line block ×4, first 2 shown]
	global_load_dwordx4 v[179:182], v192, s[4:5]
	s_nop 0
	global_load_dwordx4 v[159:162], v[159:160], off offset:3328
	s_nop 0
	global_load_dwordx4 v[183:186], v[157:158], off offset:512
	global_load_dwordx4 v[193:196], v[157:158], off offset:1792
	ds_read_b128 v[197:200], v202 offset:1024
	ds_read_b128 v[210:213], v202 offset:2304
	ds_read_b128 v[214:217], v202 offset:3584
	ds_read_b128 v[218:221], v202 offset:4864
	ds_read_b128 v[222:225], v202 offset:6144
	ds_read_b128 v[226:229], v202 offset:7424
	ds_read_b128 v[230:233], v202 offset:8704
	ds_read_b128 v[234:237], v202 offset:9984
	s_waitcnt vmcnt(7) lgkmcnt(7)
	v_mul_f64 v[157:158], v[199:200], v[165:166]
	v_mul_f64 v[165:166], v[197:198], v[165:166]
	s_waitcnt vmcnt(6) lgkmcnt(6)
	v_mul_f64 v[187:188], v[212:213], v[169:170]
	v_mul_f64 v[169:170], v[210:211], v[169:170]
	;; [unrolled: 3-line block ×8, first 2 shown]
	v_fma_f64 v[161:162], v[197:198], v[163:164], -v[157:158]
	v_fma_f64 v[163:164], v[199:200], v[163:164], v[165:166]
	v_fma_f64 v[165:166], v[210:211], v[167:168], -v[187:188]
	v_fma_f64 v[167:168], v[212:213], v[167:168], v[169:170]
	;; [unrolled: 2-line block ×8, first 2 shown]
	ds_write_b128 v202, v[161:164] offset:1024
	ds_write_b128 v202, v[165:168] offset:2304
	;; [unrolled: 1-line block ×8, first 2 shown]
.LBB0_13:
	s_or_b64 exec, exec, s[0:1]
	s_waitcnt lgkmcnt(0)
	s_barrier
	ds_read_b128 v[169:172], v0
	ds_read_b128 v[157:160], v202 offset:1280
	ds_read_b128 v[165:168], v202 offset:2560
	;; [unrolled: 1-line block ×7, first 2 shown]
	s_and_saveexec_b64 s[0:1], vcc
	s_cbranch_execz .LBB0_15
; %bb.14:
	ds_read_b128 v[125:128], v202 offset:1024
	ds_read_b128 v[129:132], v202 offset:2304
	;; [unrolled: 1-line block ×8, first 2 shown]
.LBB0_15:
	s_or_b64 exec, exec, s[0:1]
	s_waitcnt lgkmcnt(3)
	v_add_f64 v[185:186], v[169:170], -v[185:186]
	v_add_f64 v[187:188], v[171:172], -v[187:188]
	s_waitcnt lgkmcnt(1)
	v_add_f64 v[181:182], v[165:166], -v[181:182]
	v_add_f64 v[183:184], v[167:168], -v[183:184]
	;; [unrolled: 1-line block ×4, first 2 shown]
	s_waitcnt lgkmcnt(0)
	v_add_f64 v[173:174], v[161:162], -v[173:174]
	v_add_f64 v[175:176], v[163:164], -v[175:176]
	v_fma_f64 v[169:170], v[169:170], 2.0, -v[185:186]
	v_fma_f64 v[171:172], v[171:172], 2.0, -v[187:188]
	;; [unrolled: 1-line block ×8, first 2 shown]
	v_add_f64 v[197:198], v[185:186], v[183:184]
	v_add_f64 v[199:200], v[187:188], -v[181:182]
	v_add_f64 v[175:176], v[177:178], v[175:176]
	v_add_f64 v[173:174], v[179:180], -v[173:174]
	v_add_f64 v[193:194], v[169:170], -v[165:166]
	;; [unrolled: 1-line block ×5, first 2 shown]
	v_fma_f64 v[181:182], v[185:186], 2.0, -v[197:198]
	v_fma_f64 v[183:184], v[187:188], 2.0, -v[199:200]
	;; [unrolled: 1-line block ×4, first 2 shown]
	s_mov_b32 s0, 0x667f3bcd
	s_mov_b32 s1, 0xbfe6a09e
	;; [unrolled: 1-line block ×4, first 2 shown]
	v_fma_f64 v[185:186], v[175:176], s[4:5], v[197:198]
	v_fma_f64 v[187:188], v[173:174], s[4:5], v[199:200]
	;; [unrolled: 1-line block ×4, first 2 shown]
	v_add_f64 v[133:134], v[125:126], -v[133:134]
	v_add_f64 v[135:136], v[127:128], -v[135:136]
	;; [unrolled: 1-line block ×4, first 2 shown]
	v_fma_f64 v[157:158], v[157:158], 2.0, -v[167:168]
	v_fma_f64 v[159:160], v[159:160], 2.0, -v[165:166]
	v_fma_f64 v[161:162], v[161:162], s[4:5], v[177:178]
	v_fma_f64 v[163:164], v[163:164], s[0:1], v[179:180]
	v_add_f64 v[165:166], v[193:194], v[165:166]
	v_add_f64 v[167:168], v[195:196], -v[167:168]
	v_fma_f64 v[173:174], v[173:174], s[4:5], v[185:186]
	v_fma_f64 v[175:176], v[175:176], s[0:1], v[187:188]
	v_add_f64 v[141:142], v[129:130], -v[141:142]
	v_add_f64 v[143:144], v[131:132], -v[143:144]
	v_fma_f64 v[125:126], v[125:126], 2.0, -v[133:134]
	v_fma_f64 v[127:128], v[127:128], 2.0, -v[135:136]
	v_add_f64 v[153:154], v[149:150], -v[153:154]
	v_add_f64 v[155:156], v[151:152], -v[155:156]
	v_fma_f64 v[137:138], v[137:138], 2.0, -v[145:146]
	v_fma_f64 v[139:140], v[139:140], 2.0, -v[147:148]
	;; [unrolled: 1-line block ×12, first 2 shown]
	v_add_f64 v[193:194], v[147:148], v[133:134]
	v_add_f64 v[195:196], v[135:136], -v[145:146]
	v_fma_f64 v[145:146], v[149:150], 2.0, -v[153:154]
	v_fma_f64 v[147:148], v[151:152], 2.0, -v[155:156]
	v_add_f64 v[197:198], v[155:156], v[141:142]
	v_add_f64 v[199:200], v[143:144], -v[153:154]
	v_add_f64 v[205:206], v[125:126], -v[137:138]
	;; [unrolled: 1-line block ×3, first 2 shown]
	v_fma_f64 v[149:150], v[133:134], 2.0, -v[193:194]
	v_fma_f64 v[155:156], v[135:136], 2.0, -v[195:196]
	v_add_f64 v[133:134], v[129:130], -v[145:146]
	v_add_f64 v[135:136], v[131:132], -v[147:148]
	v_fma_f64 v[139:140], v[141:142], 2.0, -v[197:198]
	v_fma_f64 v[137:138], v[143:144], 2.0, -v[199:200]
	;; [unrolled: 1-line block ×4, first 2 shown]
	v_fma_f64 v[125:126], v[197:198], s[4:5], v[193:194]
	v_fma_f64 v[127:128], v[199:200], s[4:5], v[195:196]
	v_add_f64 v[157:158], v[169:170], -v[157:158]
	v_add_f64 v[159:160], v[171:172], -v[159:160]
	v_fma_f64 v[129:130], v[129:130], 2.0, -v[133:134]
	v_fma_f64 v[131:132], v[131:132], 2.0, -v[135:136]
	v_fma_f64 v[212:213], v[139:140], s[0:1], v[149:150]
	v_fma_f64 v[214:215], v[137:138], s[0:1], v[155:156]
	v_add_f64 v[141:142], v[205:206], v[135:136]
	v_add_f64 v[143:144], v[210:211], -v[133:134]
	v_fma_f64 v[145:146], v[199:200], s[4:5], v[125:126]
	v_fma_f64 v[147:148], v[197:198], s[0:1], v[127:128]
	v_fma_f64 v[169:170], v[169:170], 2.0, -v[157:158]
	v_fma_f64 v[171:172], v[171:172], 2.0, -v[159:160]
	v_add_f64 v[133:134], v[151:152], -v[129:130]
	v_add_f64 v[135:136], v[153:154], -v[131:132]
	v_fma_f64 v[137:138], v[137:138], s[4:5], v[212:213]
	v_fma_f64 v[139:140], v[139:140], s[0:1], v[214:215]
	v_fma_f64 v[125:126], v[205:206], 2.0, -v[141:142]
	v_fma_f64 v[127:128], v[210:211], 2.0, -v[143:144]
	;; [unrolled: 1-line block ×4, first 2 shown]
	s_barrier
	ds_write_b128 v207, v[169:172]
	ds_write_b128 v207, v[177:180] offset:16
	ds_write_b128 v207, v[181:184] offset:32
	ds_write_b128 v207, v[185:188] offset:48
	ds_write_b128 v207, v[157:160] offset:64
	ds_write_b128 v207, v[161:164] offset:80
	ds_write_b128 v207, v[165:168] offset:96
	ds_write_b128 v207, v[173:176] offset:112
	s_and_saveexec_b64 s[0:1], vcc
	s_cbranch_execz .LBB0_17
; %bb.16:
	v_fma_f64 v[159:160], v[153:154], 2.0, -v[135:136]
	v_fma_f64 v[157:158], v[151:152], 2.0, -v[133:134]
	;; [unrolled: 1-line block ×4, first 2 shown]
	v_add_lshl_u32 v149, v204, v208, 4
	ds_write_b128 v149, v[125:128] offset:32
	ds_write_b128 v149, v[129:132] offset:48
	ds_write_b128 v149, v[157:160]
	ds_write_b128 v149, v[153:156] offset:16
	ds_write_b128 v149, v[133:136] offset:64
	;; [unrolled: 1-line block ×5, first 2 shown]
.LBB0_17:
	s_or_b64 exec, exec, s[0:1]
	s_waitcnt lgkmcnt(0)
	s_barrier
	ds_read_b128 v[149:152], v0
	ds_read_b128 v[153:156], v202 offset:1024
	ds_read_b128 v[157:160], v202 offset:2048
	;; [unrolled: 1-line block ×5, first 2 shown]
	s_waitcnt lgkmcnt(4)
	v_mul_f64 v[193:194], v[51:52], v[155:156]
	v_mul_f64 v[51:52], v[51:52], v[153:154]
	s_waitcnt lgkmcnt(3)
	v_mul_f64 v[195:196], v[43:44], v[159:160]
	v_mul_f64 v[43:44], v[43:44], v[157:158]
	ds_read_b128 v[173:176], v202 offset:6144
	ds_read_b128 v[177:180], v202 offset:7168
	;; [unrolled: 1-line block ×4, first 2 shown]
	s_mov_b32 s4, 0x134454ff
	s_mov_b32 s5, 0xbfee6f0e
	v_fma_f64 v[153:154], v[49:50], v[153:154], v[193:194]
	v_fma_f64 v[49:50], v[49:50], v[155:156], -v[51:52]
	s_waitcnt lgkmcnt(6)
	v_mul_f64 v[51:52], v[39:40], v[163:164]
	v_mul_f64 v[39:40], v[39:40], v[161:162]
	v_fma_f64 v[155:156], v[41:42], v[157:158], v[195:196]
	s_waitcnt lgkmcnt(5)
	v_mul_f64 v[157:158], v[35:36], v[167:168]
	v_fma_f64 v[41:42], v[41:42], v[159:160], -v[43:44]
	v_mul_f64 v[35:36], v[35:36], v[165:166]
	s_waitcnt lgkmcnt(4)
	v_mul_f64 v[43:44], v[67:68], v[171:172]
	s_waitcnt lgkmcnt(3)
	v_mul_f64 v[159:160], v[55:56], v[175:176]
	v_fma_f64 v[51:52], v[37:38], v[161:162], v[51:52]
	v_fma_f64 v[37:38], v[37:38], v[163:164], -v[39:40]
	v_mul_f64 v[39:40], v[67:68], v[169:170]
	v_fma_f64 v[67:68], v[33:34], v[165:166], v[157:158]
	v_add_f64 v[157:158], v[149:150], v[155:156]
	v_fma_f64 v[33:34], v[33:34], v[167:168], -v[35:36]
	v_fma_f64 v[35:36], v[65:66], v[169:170], v[43:44]
	v_fma_f64 v[43:44], v[53:54], v[173:174], v[159:160]
	s_waitcnt lgkmcnt(1)
	v_mul_f64 v[159:160], v[63:64], v[181:182]
	v_mul_f64 v[63:64], v[63:64], v[183:184]
	v_fma_f64 v[39:40], v[65:66], v[171:172], -v[39:40]
	v_mul_f64 v[55:56], v[55:56], v[173:174]
	v_add_f64 v[65:66], v[157:158], v[67:68]
	v_mul_f64 v[157:158], v[47:48], v[179:180]
	v_mul_f64 v[47:48], v[47:48], v[177:178]
	v_add_f64 v[161:162], v[67:68], v[43:44]
	v_fma_f64 v[159:160], v[61:62], v[183:184], -v[159:160]
	v_fma_f64 v[61:62], v[61:62], v[181:182], v[63:64]
	s_waitcnt lgkmcnt(0)
	v_mul_f64 v[63:64], v[95:96], v[187:188]
	v_mul_f64 v[95:96], v[95:96], v[185:186]
	v_fma_f64 v[53:54], v[53:54], v[175:176], -v[55:56]
	v_fma_f64 v[55:56], v[45:46], v[177:178], v[157:158]
	v_fma_f64 v[45:46], v[45:46], v[179:180], -v[47:48]
	v_fma_f64 v[157:158], v[161:162], -0.5, v[149:150]
	v_add_f64 v[161:162], v[41:42], -v[159:160]
	v_add_f64 v[165:166], v[155:156], -v[67:68]
	v_fma_f64 v[47:48], v[93:94], v[185:186], v[63:64]
	v_fma_f64 v[63:64], v[93:94], v[187:188], -v[95:96]
	v_add_f64 v[93:94], v[155:156], v[61:62]
	v_add_f64 v[167:168], v[61:62], -v[43:44]
	s_mov_b32 s1, 0x3fee6f0e
	s_mov_b32 s0, s4
	v_add_f64 v[65:66], v[65:66], v[43:44]
	v_fma_f64 v[95:96], v[161:162], s[4:5], v[157:158]
	v_add_f64 v[163:164], v[33:34], -v[53:54]
	v_fma_f64 v[157:158], v[161:162], s[0:1], v[157:158]
	v_fma_f64 v[93:94], v[93:94], -0.5, v[149:150]
	v_add_f64 v[149:150], v[165:166], v[167:168]
	v_add_f64 v[165:166], v[33:34], v[53:54]
	s_mov_b32 s16, 0x4755a5e
	s_mov_b32 s17, 0xbfe2cf23
	;; [unrolled: 1-line block ×4, first 2 shown]
	v_add_f64 v[65:66], v[65:66], v[61:62]
	v_fma_f64 v[95:96], v[163:164], s[16:17], v[95:96]
	v_fma_f64 v[157:158], v[163:164], s[12:13], v[157:158]
	;; [unrolled: 1-line block ×3, first 2 shown]
	v_add_f64 v[169:170], v[67:68], -v[155:156]
	v_add_f64 v[171:172], v[43:44], -v[61:62]
	v_add_f64 v[173:174], v[151:152], v[41:42]
	v_fma_f64 v[165:166], v[165:166], -0.5, v[151:152]
	v_add_f64 v[61:62], v[155:156], -v[61:62]
	v_fma_f64 v[95:96], v[149:150], s[14:15], v[95:96]
	v_fma_f64 v[155:156], v[149:150], s[14:15], v[157:158]
	v_fma_f64 v[149:150], v[161:162], s[16:17], v[167:168]
	v_fma_f64 v[93:94], v[163:164], s[4:5], v[93:94]
	v_add_f64 v[157:158], v[169:170], v[171:172]
	v_add_f64 v[163:164], v[173:174], v[33:34]
	v_add_f64 v[43:44], v[67:68], -v[43:44]
	v_fma_f64 v[167:168], v[61:62], s[0:1], v[165:166]
	v_add_f64 v[67:68], v[41:42], -v[33:34]
	v_add_f64 v[169:170], v[159:160], -v[53:54]
	v_fma_f64 v[165:166], v[61:62], s[4:5], v[165:166]
	v_add_f64 v[171:172], v[41:42], v[159:160]
	v_fma_f64 v[93:94], v[161:162], s[12:13], v[93:94]
	v_add_f64 v[161:162], v[163:164], v[53:54]
	v_add_f64 v[163:164], v[35:36], v[55:56]
	v_fma_f64 v[167:168], v[43:44], s[12:13], v[167:168]
	v_fma_f64 v[149:150], v[157:158], s[14:15], v[149:150]
	v_add_f64 v[67:68], v[67:68], v[169:170]
	v_fma_f64 v[165:166], v[43:44], s[16:17], v[165:166]
	v_fma_f64 v[151:152], v[171:172], -0.5, v[151:152]
	v_fma_f64 v[157:158], v[157:158], s[14:15], v[93:94]
	v_add_f64 v[93:94], v[153:154], v[51:52]
	v_fma_f64 v[163:164], v[163:164], -0.5, v[153:154]
	v_add_f64 v[169:170], v[37:38], -v[63:64]
	v_add_f64 v[33:34], v[33:34], -v[41:42]
	v_fma_f64 v[167:168], v[67:68], s[14:15], v[167:168]
	v_fma_f64 v[165:166], v[67:68], s[14:15], v[165:166]
	;; [unrolled: 1-line block ×3, first 2 shown]
	v_add_f64 v[41:42], v[53:54], -v[159:160]
	v_fma_f64 v[43:44], v[43:44], s[0:1], v[151:152]
	v_add_f64 v[161:162], v[161:162], v[159:160]
	v_add_f64 v[53:54], v[93:94], v[35:36]
	v_fma_f64 v[93:94], v[169:170], s[4:5], v[163:164]
	v_add_f64 v[151:152], v[39:40], -v[45:46]
	v_add_f64 v[159:160], v[51:52], -v[35:36]
	;; [unrolled: 1-line block ×3, first 2 shown]
	v_add_f64 v[173:174], v[51:52], v[47:48]
	v_add_f64 v[175:176], v[39:40], v[45:46]
	;; [unrolled: 1-line block ×3, first 2 shown]
	v_fma_f64 v[41:42], v[61:62], s[16:17], v[43:44]
	v_fma_f64 v[67:68], v[61:62], s[12:13], v[67:68]
	v_add_f64 v[43:44], v[53:54], v[55:56]
	v_fma_f64 v[53:54], v[151:152], s[16:17], v[93:94]
	v_add_f64 v[61:62], v[159:160], v[171:172]
	v_fma_f64 v[93:94], v[173:174], -0.5, v[153:154]
	v_fma_f64 v[153:154], v[169:170], s[0:1], v[163:164]
	v_fma_f64 v[159:160], v[175:176], -0.5, v[49:50]
	v_add_f64 v[163:164], v[51:52], -v[47:48]
	v_fma_f64 v[173:174], v[33:34], s[14:15], v[41:42]
	v_add_f64 v[41:42], v[37:38], v[63:64]
	v_fma_f64 v[171:172], v[33:34], s[14:15], v[67:68]
	v_add_f64 v[175:176], v[35:36], -v[55:56]
	v_add_f64 v[177:178], v[37:38], -v[39:40]
	v_fma_f64 v[67:68], v[151:152], s[12:13], v[153:154]
	v_add_f64 v[179:180], v[63:64], -v[45:46]
	v_fma_f64 v[153:154], v[163:164], s[0:1], v[159:160]
	v_add_f64 v[33:34], v[43:44], v[47:48]
	v_fma_f64 v[41:42], v[41:42], -0.5, v[49:50]
	v_add_f64 v[49:50], v[49:50], v[37:38]
	v_fma_f64 v[43:44], v[151:152], s[0:1], v[93:94]
	v_add_f64 v[35:36], v[35:36], -v[51:52]
	v_add_f64 v[47:48], v[55:56], -v[47:48]
	v_fma_f64 v[51:52], v[151:152], s[4:5], v[93:94]
	v_fma_f64 v[55:56], v[175:176], s[12:13], v[153:154]
	v_add_f64 v[93:94], v[177:178], v[179:180]
	v_fma_f64 v[151:152], v[175:176], s[4:5], v[41:42]
	v_add_f64 v[37:38], v[39:40], -v[37:38]
	v_add_f64 v[153:154], v[45:46], -v[63:64]
	v_fma_f64 v[41:42], v[175:176], s[0:1], v[41:42]
	v_add_f64 v[39:40], v[49:50], v[39:40]
	v_fma_f64 v[49:50], v[163:164], s[4:5], v[159:160]
	v_fma_f64 v[43:44], v[169:170], s[16:17], v[43:44]
	v_add_f64 v[35:36], v[35:36], v[47:48]
	v_fma_f64 v[47:48], v[169:170], s[12:13], v[51:52]
	v_fma_f64 v[51:52], v[93:94], s[14:15], v[55:56]
	;; [unrolled: 1-line block ×3, first 2 shown]
	v_add_f64 v[37:38], v[37:38], v[153:154]
	v_fma_f64 v[41:42], v[163:164], s[16:17], v[41:42]
	v_add_f64 v[39:40], v[39:40], v[45:46]
	v_fma_f64 v[45:46], v[175:176], s[16:17], v[49:50]
	v_fma_f64 v[53:54], v[61:62], s[14:15], v[53:54]
	;; [unrolled: 1-line block ×4, first 2 shown]
	v_mul_f64 v[47:48], v[51:52], s[16:17]
	v_fma_f64 v[55:56], v[37:38], s[14:15], v[55:56]
	v_fma_f64 v[37:38], v[37:38], s[14:15], v[41:42]
	s_mov_b32 s18, 0x9b97f4a8
	v_fma_f64 v[45:46], v[93:94], s[14:15], v[45:46]
	s_mov_b32 s19, 0x3fe9e377
	v_mul_f64 v[51:52], v[51:52], s[18:19]
	v_fma_f64 v[49:50], v[61:62], s[14:15], v[67:68]
	v_fma_f64 v[67:68], v[53:54], s[18:19], v[47:48]
	v_mul_f64 v[47:48], v[55:56], s[4:5]
	v_mul_f64 v[61:62], v[37:38], s[4:5]
	s_mov_b32 s5, 0xbfd3c6ef
	s_mov_b32 s4, s14
	v_mul_f64 v[55:56], v[55:56], s[14:15]
	v_add_f64 v[39:40], v[39:40], v[63:64]
	v_mul_f64 v[63:64], v[45:46], s[16:17]
	s_mov_b32 s17, 0xbfe9e377
	s_mov_b32 s16, s18
	v_mul_f64 v[37:38], v[37:38], s[4:5]
	v_mul_f64 v[93:94], v[45:46], s[16:17]
	v_fma_f64 v[163:164], v[53:54], s[12:13], v[51:52]
	v_fma_f64 v[151:152], v[43:44], s[14:15], v[47:48]
	;; [unrolled: 1-line block ×5, first 2 shown]
	v_add_f64 v[41:42], v[65:66], v[33:34]
	v_fma_f64 v[35:36], v[35:36], s[0:1], v[37:38]
	v_fma_f64 v[175:176], v[49:50], s[12:13], v[93:94]
	v_add_f64 v[43:44], v[161:162], v[39:40]
	v_add_f64 v[45:46], v[95:96], v[67:68]
	;; [unrolled: 1-line block ×9, first 2 shown]
	v_add_f64 v[65:66], v[65:66], -v[33:34]
	v_add_f64 v[93:94], v[95:96], -v[67:68]
	;; [unrolled: 1-line block ×10, first 2 shown]
	s_barrier
	ds_write_b128 v209, v[41:44]
	ds_write_b128 v209, v[45:48] offset:128
	ds_write_b128 v209, v[49:52] offset:256
	;; [unrolled: 1-line block ×9, first 2 shown]
	s_waitcnt lgkmcnt(0)
	s_barrier
	ds_read_b128 v[41:44], v0
	ds_read_b128 v[149:152], v202 offset:1280
	ds_read_b128 v[93:96], v202 offset:2560
	;; [unrolled: 1-line block ×7, first 2 shown]
	s_and_saveexec_b64 s[0:1], vcc
	s_cbranch_execz .LBB0_19
; %bb.18:
	ds_read_b128 v[33:36], v202 offset:1024
	ds_read_b128 v[37:40], v202 offset:2304
	;; [unrolled: 1-line block ×8, first 2 shown]
.LBB0_19:
	s_or_b64 exec, exec, s[0:1]
	s_waitcnt lgkmcnt(6)
	v_mul_f64 v[153:154], v[91:92], v[151:152]
	v_mul_f64 v[91:92], v[91:92], v[149:150]
	s_waitcnt lgkmcnt(5)
	v_mul_f64 v[155:156], v[87:88], v[95:96]
	v_mul_f64 v[87:88], v[87:88], v[93:94]
	;; [unrolled: 3-line block ×3, first 2 shown]
	s_mov_b32 s0, 0x667f3bcd
	s_mov_b32 s1, 0xbfe6a09e
	v_fma_f64 v[149:150], v[89:90], v[149:150], v[153:154]
	v_fma_f64 v[89:90], v[89:90], v[151:152], -v[91:92]
	v_fma_f64 v[91:92], v[85:86], v[93:94], v[155:156]
	v_fma_f64 v[85:86], v[85:86], v[95:96], -v[87:88]
	;; [unrolled: 2-line block ×3, first 2 shown]
	s_waitcnt lgkmcnt(3)
	v_mul_f64 v[81:82], v[59:60], v[55:56]
	v_mul_f64 v[59:60], v[59:60], v[53:54]
	s_waitcnt lgkmcnt(1)
	v_mul_f64 v[83:84], v[79:80], v[63:64]
	v_mul_f64 v[79:80], v[79:80], v[61:62]
	;; [unrolled: 1-line block ×4, first 2 shown]
	s_waitcnt lgkmcnt(0)
	v_mul_f64 v[93:94], v[71:72], v[51:52]
	v_mul_f64 v[71:72], v[71:72], v[49:50]
	v_fma_f64 v[53:54], v[57:58], v[53:54], v[81:82]
	v_fma_f64 v[55:56], v[57:58], v[55:56], -v[59:60]
	v_fma_f64 v[57:58], v[77:78], v[61:62], v[83:84]
	v_fma_f64 v[59:60], v[77:78], v[63:64], -v[79:80]
	;; [unrolled: 2-line block ×4, first 2 shown]
	v_add_f64 v[53:54], v[41:42], -v[53:54]
	v_add_f64 v[55:56], v[43:44], -v[55:56]
	;; [unrolled: 1-line block ×8, first 2 shown]
	v_fma_f64 v[41:42], v[41:42], 2.0, -v[53:54]
	v_fma_f64 v[43:44], v[43:44], 2.0, -v[55:56]
	;; [unrolled: 1-line block ×8, first 2 shown]
	v_add_f64 v[73:74], v[53:54], v[59:60]
	v_add_f64 v[75:76], v[55:56], -v[57:58]
	v_add_f64 v[57:58], v[45:46], v[51:52]
	v_add_f64 v[59:60], v[47:48], -v[49:50]
	v_add_f64 v[77:78], v[41:42], -v[61:62]
	;; [unrolled: 1-line block ×5, first 2 shown]
	v_fma_f64 v[61:62], v[53:54], 2.0, -v[73:74]
	v_fma_f64 v[63:64], v[55:56], 2.0, -v[75:76]
	;; [unrolled: 1-line block ×8, first 2 shown]
	s_mov_b32 s5, 0x3fe6a09e
	s_mov_b32 s4, s0
	v_fma_f64 v[47:48], v[53:54], s[0:1], v[61:62]
	v_fma_f64 v[55:56], v[45:46], s[0:1], v[63:64]
	;; [unrolled: 1-line block ×4, first 2 shown]
	v_add_f64 v[41:42], v[65:66], -v[41:42]
	v_add_f64 v[43:44], v[67:68], -v[43:44]
	v_add_f64 v[49:50], v[77:78], v[49:50]
	v_add_f64 v[51:52], v[79:80], -v[51:52]
	v_fma_f64 v[45:46], v[45:46], s[4:5], v[47:48]
	v_fma_f64 v[47:48], v[53:54], s[0:1], v[55:56]
	;; [unrolled: 1-line block ×4, first 2 shown]
	v_fma_f64 v[57:58], v[65:66], 2.0, -v[41:42]
	v_fma_f64 v[59:60], v[67:68], 2.0, -v[43:44]
	;; [unrolled: 1-line block ×8, first 2 shown]
	ds_write_b128 v0, v[57:60]
	ds_write_b128 v202, v[61:64] offset:1280
	ds_write_b128 v202, v[65:68] offset:2560
	;; [unrolled: 1-line block ×7, first 2 shown]
	s_and_saveexec_b64 s[12:13], vcc
	s_cbranch_execz .LBB0_21
; %bb.20:
	v_mul_f64 v[47:48], v[111:112], v[37:38]
	v_mul_f64 v[49:50], v[123:124], v[137:138]
	;; [unrolled: 1-line block ×9, first 2 shown]
	v_fma_f64 v[39:40], v[109:110], v[39:40], -v[47:48]
	v_fma_f64 v[47:48], v[121:122], v[139:140], -v[49:50]
	v_fma_f64 v[49:50], v[101:102], v[129:130], v[51:52]
	v_mul_f64 v[51:52], v[119:120], v[141:142]
	v_mul_f64 v[59:60], v[123:124], v[139:140]
	;; [unrolled: 1-line block ×5, first 2 shown]
	v_fma_f64 v[41:42], v[97:98], v[135:136], -v[41:42]
	v_fma_f64 v[43:44], v[105:106], v[125:126], v[43:44]
	v_fma_f64 v[45:46], v[117:118], v[141:142], v[45:46]
	;; [unrolled: 1-line block ×4, first 2 shown]
	v_fma_f64 v[55:56], v[105:106], v[127:128], -v[57:58]
	v_fma_f64 v[51:52], v[117:118], v[143:144], -v[51:52]
	v_fma_f64 v[57:58], v[121:122], v[137:138], v[59:60]
	v_fma_f64 v[59:60], v[97:98], v[133:134], v[61:62]
	v_fma_f64 v[61:62], v[101:102], v[131:132], -v[63:64]
	v_fma_f64 v[63:64], v[113:114], v[147:148], -v[65:66]
	v_add_f64 v[41:42], v[35:36], -v[41:42]
	v_add_f64 v[45:46], v[43:44], -v[45:46]
	v_add_f64 v[47:48], v[39:40], -v[47:48]
	v_add_f64 v[53:54], v[49:50], -v[53:54]
	v_add_f64 v[51:52], v[55:56], -v[51:52]
	v_add_f64 v[57:58], v[37:38], -v[57:58]
	v_add_f64 v[59:60], v[33:34], -v[59:60]
	v_add_f64 v[63:64], v[61:62], -v[63:64]
	v_fma_f64 v[35:36], v[35:36], 2.0, -v[41:42]
	v_add_f64 v[65:66], v[41:42], -v[45:46]
	v_fma_f64 v[39:40], v[39:40], 2.0, -v[47:48]
	v_add_f64 v[67:68], v[47:48], -v[53:54]
	v_fma_f64 v[55:56], v[55:56], 2.0, -v[51:52]
	v_fma_f64 v[37:38], v[37:38], 2.0, -v[57:58]
	v_fma_f64 v[49:50], v[49:50], 2.0, -v[53:54]
	v_fma_f64 v[33:34], v[33:34], 2.0, -v[59:60]
	v_fma_f64 v[53:54], v[61:62], 2.0, -v[63:64]
	v_fma_f64 v[43:44], v[43:44], 2.0, -v[45:46]
	v_add_f64 v[45:46], v[63:64], v[57:58]
	v_add_f64 v[69:70], v[51:52], v[59:60]
	v_add_f64 v[55:56], v[35:36], -v[55:56]
	v_fma_f64 v[61:62], v[41:42], 2.0, -v[65:66]
	v_fma_f64 v[41:42], v[47:48], 2.0, -v[67:68]
	v_add_f64 v[47:48], v[37:38], -v[49:50]
	v_add_f64 v[49:50], v[39:40], -v[53:54]
	;; [unrolled: 1-line block ×3, first 2 shown]
	v_fma_f64 v[43:44], v[57:58], 2.0, -v[45:46]
	v_fma_f64 v[57:58], v[59:60], 2.0, -v[69:70]
	v_fma_f64 v[51:52], v[67:68], s[4:5], v[65:66]
	v_fma_f64 v[63:64], v[35:36], 2.0, -v[55:56]
	v_fma_f64 v[59:60], v[41:42], s[0:1], v[61:62]
	v_fma_f64 v[75:76], v[45:46], s[4:5], v[69:70]
	v_fma_f64 v[71:72], v[39:40], 2.0, -v[49:50]
	v_fma_f64 v[73:74], v[33:34], 2.0, -v[53:54]
	;; [unrolled: 1-line block ×3, first 2 shown]
	v_fma_f64 v[37:38], v[43:44], s[0:1], v[57:58]
	v_fma_f64 v[35:36], v[45:46], s[0:1], v[51:52]
	v_add_f64 v[39:40], v[55:56], -v[47:48]
	v_fma_f64 v[43:44], v[43:44], s[0:1], v[59:60]
	v_add_f64 v[47:48], v[63:64], -v[71:72]
	v_add_f64 v[45:46], v[73:74], -v[33:34]
	v_fma_f64 v[41:42], v[41:42], s[4:5], v[37:38]
	v_add_f64 v[37:38], v[53:54], v[49:50]
	v_fma_f64 v[33:34], v[67:68], s[4:5], v[75:76]
	v_fma_f64 v[59:60], v[61:62], 2.0, -v[43:44]
	v_fma_f64 v[55:56], v[55:56], 2.0, -v[39:40]
	;; [unrolled: 1-line block ×8, first 2 shown]
	ds_write_b128 v202, v[61:64] offset:1024
	ds_write_b128 v202, v[57:60] offset:2304
	;; [unrolled: 1-line block ×8, first 2 shown]
.LBB0_21:
	s_or_b64 exec, exec, s[12:13]
	s_waitcnt lgkmcnt(0)
	s_barrier
	ds_read_b128 v[33:36], v0
	ds_read_b128 v[37:40], v202 offset:1280
	v_mad_u64_u32 v[41:42], s[0:1], s10, v191, 0
	s_mov_b32 s4, 0x9999999a
	s_waitcnt lgkmcnt(1)
	v_mul_f64 v[43:44], v[31:32], v[35:36]
	v_mul_f64 v[31:32], v[31:32], v[33:34]
	v_mov_b32_e32 v0, v42
	v_mad_u64_u32 v[45:46], s[0:1], s11, v191, v[0:1]
	v_mad_u64_u32 v[46:47], s[0:1], s8, v203, 0
	s_mov_b32 s5, 0x3f599999
	v_fma_f64 v[33:34], v[29:30], v[33:34], v[43:44]
	v_mov_b32_e32 v0, v47
	v_fma_f64 v[31:32], v[29:30], v[35:36], -v[31:32]
	v_mad_u64_u32 v[35:36], s[0:1], s9, v203, v[0:1]
	v_mov_b32_e32 v42, v45
	v_mov_b32_e32 v0, s7
	;; [unrolled: 1-line block ×3, first 2 shown]
	s_waitcnt lgkmcnt(0)
	v_mul_f64 v[35:36], v[27:28], v[39:40]
	v_mul_f64 v[27:28], v[27:28], v[37:38]
	;; [unrolled: 1-line block ×4, first 2 shown]
	v_lshlrev_b64 v[33:34], 4, v[41:42]
	v_add_co_u32_e64 v41, s[0:1], s6, v33
	v_fma_f64 v[35:36], v[25:26], v[37:38], v[35:36]
	v_fma_f64 v[37:38], v[25:26], v[39:40], -v[27:28]
	ds_read_b128 v[25:28], v202 offset:2560
	v_addc_co_u32_e64 v0, s[0:1], v0, v34, s[0:1]
	v_lshlrev_b64 v[33:34], 4, v[46:47]
	v_add_co_u32_e64 v39, s[0:1], v41, v33
	v_addc_co_u32_e64 v40, s[0:1], v0, v34, s[0:1]
	global_store_dwordx4 v[39:40], v[29:32], off
	s_mul_i32 s0, s9, 0x50
	v_mul_f64 v[29:30], v[35:36], s[4:5]
	ds_read_b128 v[33:36], v202 offset:3840
	v_mul_f64 v[31:32], v[37:38], s[4:5]
	s_waitcnt lgkmcnt(1)
	v_mul_f64 v[37:38], v[23:24], v[27:28]
	v_mul_f64 v[23:24], v[23:24], v[25:26]
	s_mul_hi_u32 s1, s8, 0x50
	s_add_i32 s1, s1, s0
	s_mul_i32 s0, s8, 0x50
	s_lshl_b64 s[6:7], s[0:1], 4
	v_mov_b32_e32 v41, s7
	v_add_co_u32_e64 v39, s[0:1], s6, v39
	v_fma_f64 v[25:26], v[21:22], v[25:26], v[37:38]
	v_fma_f64 v[23:24], v[21:22], v[27:28], -v[23:24]
	s_waitcnt lgkmcnt(0)
	v_mul_f64 v[37:38], v[7:8], v[35:36]
	v_mul_f64 v[7:8], v[7:8], v[33:34]
	v_addc_co_u32_e64 v40, s[0:1], v40, v41, s[0:1]
	global_store_dwordx4 v[39:40], v[29:32], off
	v_mul_f64 v[21:22], v[25:26], s[4:5]
	ds_read_b128 v[25:28], v202 offset:5120
	v_mul_f64 v[23:24], v[23:24], s[4:5]
	v_fma_f64 v[29:30], v[5:6], v[33:34], v[37:38]
	v_fma_f64 v[31:32], v[5:6], v[35:36], -v[7:8]
	ds_read_b128 v[5:8], v202 offset:6400
	s_waitcnt lgkmcnt(1)
	v_mul_f64 v[33:34], v[11:12], v[27:28]
	v_add_co_u32_e64 v35, s[0:1], s6, v39
	v_mul_f64 v[11:12], v[11:12], v[25:26]
	v_addc_co_u32_e64 v36, s[0:1], v40, v41, s[0:1]
	global_store_dwordx4 v[35:36], v[21:24], off
	v_fma_f64 v[25:26], v[9:10], v[25:26], v[33:34]
	v_mul_f64 v[21:22], v[29:30], s[4:5]
	v_mul_f64 v[23:24], v[31:32], s[4:5]
	s_waitcnt lgkmcnt(0)
	v_mul_f64 v[29:30], v[15:16], v[7:8]
	v_mul_f64 v[15:16], v[15:16], v[5:6]
	v_add_co_u32_e64 v31, s[0:1], s6, v35
	v_fma_f64 v[11:12], v[9:10], v[27:28], -v[11:12]
	v_addc_co_u32_e64 v32, s[0:1], v36, v41, s[0:1]
	global_store_dwordx4 v[31:32], v[21:24], off
	ds_read_b128 v[21:24], v202 offset:7680
	v_mul_f64 v[9:10], v[25:26], s[4:5]
	ds_read_b128 v[25:28], v202 offset:8960
	v_fma_f64 v[5:6], v[13:14], v[5:6], v[29:30]
	v_fma_f64 v[7:8], v[13:14], v[7:8], -v[15:16]
	s_waitcnt lgkmcnt(1)
	v_mul_f64 v[13:14], v[3:4], v[23:24]
	v_mul_f64 v[15:16], v[3:4], v[21:22]
	;; [unrolled: 1-line block ×3, first 2 shown]
	s_waitcnt lgkmcnt(0)
	v_mul_f64 v[29:30], v[19:20], v[27:28]
	v_mul_f64 v[19:20], v[19:20], v[25:26]
	v_add_co_u32_e64 v31, s[0:1], s6, v31
	v_mul_f64 v[3:4], v[5:6], s[4:5]
	v_mul_f64 v[5:6], v[7:8], s[4:5]
	v_fma_f64 v[7:8], v[1:2], v[21:22], v[13:14]
	v_fma_f64 v[0:1], v[1:2], v[23:24], -v[15:16]
	v_addc_co_u32_e64 v32, s[0:1], v32, v41, s[0:1]
	global_store_dwordx4 v[31:32], v[9:12], off
	v_fma_f64 v[13:14], v[17:18], v[27:28], -v[19:20]
	v_fma_f64 v[11:12], v[17:18], v[25:26], v[29:30]
	v_add_co_u32_e64 v15, s[0:1], s6, v31
	v_mul_f64 v[7:8], v[7:8], s[4:5]
	v_mul_f64 v[9:10], v[0:1], s[4:5]
	v_addc_co_u32_e64 v16, s[0:1], v32, v41, s[0:1]
	global_store_dwordx4 v[15:16], v[3:6], off
	v_add_co_u32_e64 v0, s[0:1], s6, v15
	v_mul_f64 v[2:3], v[11:12], s[4:5]
	v_mul_f64 v[4:5], v[13:14], s[4:5]
	v_addc_co_u32_e64 v1, s[0:1], v16, v41, s[0:1]
	global_store_dwordx4 v[0:1], v[7:10], off
	v_add_co_u32_e64 v0, s[0:1], s6, v0
	v_addc_co_u32_e64 v1, s[0:1], v1, v41, s[0:1]
	global_store_dwordx4 v[0:1], v[2:5], off
	s_and_b64 exec, exec, vcc
	s_cbranch_execz .LBB0_23
; %bb.22:
	s_movk_i32 s0, 0x1000
	v_add_co_u32_e32 v34, vcc, s0, v189
	global_load_dwordx4 v[2:5], v[189:190], off offset:1024
	global_load_dwordx4 v[6:9], v[189:190], off offset:2304
	global_load_dwordx4 v[10:13], v[189:190], off offset:3584
	v_addc_co_u32_e32 v35, vcc, 0, v190, vcc
	global_load_dwordx4 v[14:17], v[34:35], off offset:768
	ds_read_b128 v[18:21], v202 offset:1024
	ds_read_b128 v[22:25], v202 offset:2304
	v_mov_b32_e32 v26, 0xffffe100
	v_mad_u64_u32 v[36:37], s[0:1], s8, v26, v[0:1]
	ds_read_b128 v[26:29], v202 offset:3584
	ds_read_b128 v[30:33], v202 offset:4864
	s_mulk_i32 s9, 0xe100
	s_sub_i32 s0, s9, s8
	v_mov_b32_e32 v48, s7
	v_add_u32_e32 v37, s0, v37
	v_add_co_u32_e32 v38, vcc, s6, v36
	v_addc_co_u32_e32 v39, vcc, v37, v48, vcc
	v_add_co_u32_e32 v40, vcc, s6, v38
	v_addc_co_u32_e32 v41, vcc, v39, v48, vcc
	s_movk_i32 s0, 0x2000
	s_waitcnt vmcnt(3) lgkmcnt(3)
	v_mul_f64 v[0:1], v[20:21], v[4:5]
	v_mul_f64 v[4:5], v[18:19], v[4:5]
	s_waitcnt vmcnt(2) lgkmcnt(2)
	v_mul_f64 v[42:43], v[24:25], v[8:9]
	v_mul_f64 v[8:9], v[22:23], v[8:9]
	;; [unrolled: 3-line block ×4, first 2 shown]
	v_fma_f64 v[0:1], v[18:19], v[2:3], v[0:1]
	v_fma_f64 v[2:3], v[2:3], v[20:21], -v[4:5]
	v_fma_f64 v[4:5], v[22:23], v[6:7], v[42:43]
	v_fma_f64 v[6:7], v[6:7], v[24:25], -v[8:9]
	;; [unrolled: 2-line block ×4, first 2 shown]
	v_mul_f64 v[0:1], v[0:1], s[4:5]
	v_mul_f64 v[2:3], v[2:3], s[4:5]
	v_mul_f64 v[4:5], v[4:5], s[4:5]
	v_mul_f64 v[6:7], v[6:7], s[4:5]
	v_mul_f64 v[8:9], v[8:9], s[4:5]
	v_mul_f64 v[10:11], v[10:11], s[4:5]
	v_mul_f64 v[12:13], v[12:13], s[4:5]
	v_mul_f64 v[14:15], v[14:15], s[4:5]
	v_add_co_u32_e32 v16, vcc, s6, v40
	v_addc_co_u32_e32 v17, vcc, v41, v48, vcc
	global_store_dwordx4 v[36:37], v[0:3], off
	global_store_dwordx4 v[38:39], v[4:7], off
	;; [unrolled: 1-line block ×4, first 2 shown]
	global_load_dwordx4 v[0:3], v192, s[2:3]
	ds_read_b128 v[4:7], v202 offset:6144
	ds_read_b128 v[8:11], v202 offset:7424
	s_waitcnt vmcnt(0) lgkmcnt(1)
	v_mul_f64 v[12:13], v[6:7], v[2:3]
	v_mul_f64 v[2:3], v[4:5], v[2:3]
	v_fma_f64 v[4:5], v[4:5], v[0:1], v[12:13]
	v_fma_f64 v[2:3], v[0:1], v[6:7], -v[2:3]
	v_mul_f64 v[0:1], v[4:5], s[4:5]
	v_mul_f64 v[2:3], v[2:3], s[4:5]
	v_add_co_u32_e32 v4, vcc, s6, v16
	v_addc_co_u32_e32 v5, vcc, v17, v48, vcc
	v_add_co_u32_e32 v12, vcc, s0, v189
	v_addc_co_u32_e32 v13, vcc, 0, v190, vcc
	global_store_dwordx4 v[4:5], v[0:3], off
	global_load_dwordx4 v[0:3], v[34:35], off offset:3328
	v_add_co_u32_e32 v14, vcc, s6, v4
	v_addc_co_u32_e32 v15, vcc, v5, v48, vcc
	s_waitcnt vmcnt(0) lgkmcnt(0)
	v_mul_f64 v[6:7], v[10:11], v[2:3]
	v_mul_f64 v[2:3], v[8:9], v[2:3]
	v_fma_f64 v[6:7], v[8:9], v[0:1], v[6:7]
	v_fma_f64 v[2:3], v[0:1], v[10:11], -v[2:3]
	v_mul_f64 v[0:1], v[6:7], s[4:5]
	v_mul_f64 v[2:3], v[2:3], s[4:5]
	global_store_dwordx4 v[14:15], v[0:3], off
	global_load_dwordx4 v[0:3], v[12:13], off offset:512
	ds_read_b128 v[4:7], v202 offset:8704
	ds_read_b128 v[8:11], v202 offset:9984
	s_waitcnt vmcnt(0) lgkmcnt(1)
	v_mul_f64 v[16:17], v[6:7], v[2:3]
	v_mul_f64 v[2:3], v[4:5], v[2:3]
	v_fma_f64 v[4:5], v[4:5], v[0:1], v[16:17]
	v_fma_f64 v[2:3], v[0:1], v[6:7], -v[2:3]
	v_mul_f64 v[0:1], v[4:5], s[4:5]
	v_mul_f64 v[2:3], v[2:3], s[4:5]
	v_add_co_u32_e32 v4, vcc, s6, v14
	v_addc_co_u32_e32 v5, vcc, v15, v48, vcc
	global_store_dwordx4 v[4:5], v[0:3], off
	global_load_dwordx4 v[0:3], v[12:13], off offset:1792
	v_add_co_u32_e32 v4, vcc, s6, v4
	v_addc_co_u32_e32 v5, vcc, v5, v48, vcc
	s_waitcnt vmcnt(0) lgkmcnt(0)
	v_mul_f64 v[6:7], v[10:11], v[2:3]
	v_mul_f64 v[2:3], v[8:9], v[2:3]
	v_fma_f64 v[6:7], v[8:9], v[0:1], v[6:7]
	v_fma_f64 v[2:3], v[0:1], v[10:11], -v[2:3]
	v_mul_f64 v[0:1], v[6:7], s[4:5]
	v_mul_f64 v[2:3], v[2:3], s[4:5]
	global_store_dwordx4 v[4:5], v[0:3], off
.LBB0_23:
	s_endpgm
	.section	.rodata,"a",@progbits
	.p2align	6, 0x0
	.amdhsa_kernel bluestein_single_fwd_len640_dim1_dp_op_CI_CI
		.amdhsa_group_segment_fixed_size 20480
		.amdhsa_private_segment_fixed_size 0
		.amdhsa_kernarg_size 104
		.amdhsa_user_sgpr_count 6
		.amdhsa_user_sgpr_private_segment_buffer 1
		.amdhsa_user_sgpr_dispatch_ptr 0
		.amdhsa_user_sgpr_queue_ptr 0
		.amdhsa_user_sgpr_kernarg_segment_ptr 1
		.amdhsa_user_sgpr_dispatch_id 0
		.amdhsa_user_sgpr_flat_scratch_init 0
		.amdhsa_user_sgpr_private_segment_size 0
		.amdhsa_uses_dynamic_stack 0
		.amdhsa_system_sgpr_private_segment_wavefront_offset 0
		.amdhsa_system_sgpr_workgroup_id_x 1
		.amdhsa_system_sgpr_workgroup_id_y 0
		.amdhsa_system_sgpr_workgroup_id_z 0
		.amdhsa_system_sgpr_workgroup_info 0
		.amdhsa_system_vgpr_workitem_id 0
		.amdhsa_next_free_vgpr 250
		.amdhsa_next_free_sgpr 22
		.amdhsa_reserve_vcc 1
		.amdhsa_reserve_flat_scratch 0
		.amdhsa_float_round_mode_32 0
		.amdhsa_float_round_mode_16_64 0
		.amdhsa_float_denorm_mode_32 3
		.amdhsa_float_denorm_mode_16_64 3
		.amdhsa_dx10_clamp 1
		.amdhsa_ieee_mode 1
		.amdhsa_fp16_overflow 0
		.amdhsa_exception_fp_ieee_invalid_op 0
		.amdhsa_exception_fp_denorm_src 0
		.amdhsa_exception_fp_ieee_div_zero 0
		.amdhsa_exception_fp_ieee_overflow 0
		.amdhsa_exception_fp_ieee_underflow 0
		.amdhsa_exception_fp_ieee_inexact 0
		.amdhsa_exception_int_div_zero 0
	.end_amdhsa_kernel
	.text
.Lfunc_end0:
	.size	bluestein_single_fwd_len640_dim1_dp_op_CI_CI, .Lfunc_end0-bluestein_single_fwd_len640_dim1_dp_op_CI_CI
                                        ; -- End function
	.section	.AMDGPU.csdata,"",@progbits
; Kernel info:
; codeLenInByte = 13540
; NumSgprs: 26
; NumVgprs: 250
; ScratchSize: 0
; MemoryBound: 0
; FloatMode: 240
; IeeeMode: 1
; LDSByteSize: 20480 bytes/workgroup (compile time only)
; SGPRBlocks: 3
; VGPRBlocks: 62
; NumSGPRsForWavesPerEU: 26
; NumVGPRsForWavesPerEU: 250
; Occupancy: 1
; WaveLimiterHint : 1
; COMPUTE_PGM_RSRC2:SCRATCH_EN: 0
; COMPUTE_PGM_RSRC2:USER_SGPR: 6
; COMPUTE_PGM_RSRC2:TRAP_HANDLER: 0
; COMPUTE_PGM_RSRC2:TGID_X_EN: 1
; COMPUTE_PGM_RSRC2:TGID_Y_EN: 0
; COMPUTE_PGM_RSRC2:TGID_Z_EN: 0
; COMPUTE_PGM_RSRC2:TIDIG_COMP_CNT: 0
	.type	__hip_cuid_cd27a84c8f105c33,@object ; @__hip_cuid_cd27a84c8f105c33
	.section	.bss,"aw",@nobits
	.globl	__hip_cuid_cd27a84c8f105c33
__hip_cuid_cd27a84c8f105c33:
	.byte	0                               ; 0x0
	.size	__hip_cuid_cd27a84c8f105c33, 1

	.ident	"AMD clang version 19.0.0git (https://github.com/RadeonOpenCompute/llvm-project roc-6.4.0 25133 c7fe45cf4b819c5991fe208aaa96edf142730f1d)"
	.section	".note.GNU-stack","",@progbits
	.addrsig
	.addrsig_sym __hip_cuid_cd27a84c8f105c33
	.amdgpu_metadata
---
amdhsa.kernels:
  - .args:
      - .actual_access:  read_only
        .address_space:  global
        .offset:         0
        .size:           8
        .value_kind:     global_buffer
      - .actual_access:  read_only
        .address_space:  global
        .offset:         8
        .size:           8
        .value_kind:     global_buffer
      - .actual_access:  read_only
        .address_space:  global
        .offset:         16
        .size:           8
        .value_kind:     global_buffer
      - .actual_access:  read_only
        .address_space:  global
        .offset:         24
        .size:           8
        .value_kind:     global_buffer
      - .actual_access:  read_only
        .address_space:  global
        .offset:         32
        .size:           8
        .value_kind:     global_buffer
      - .offset:         40
        .size:           8
        .value_kind:     by_value
      - .address_space:  global
        .offset:         48
        .size:           8
        .value_kind:     global_buffer
      - .address_space:  global
        .offset:         56
        .size:           8
        .value_kind:     global_buffer
      - .address_space:  global
        .offset:         64
        .size:           8
        .value_kind:     global_buffer
      - .address_space:  global
        .offset:         72
        .size:           8
        .value_kind:     global_buffer
      - .offset:         80
        .size:           4
        .value_kind:     by_value
      - .address_space:  global
        .offset:         88
        .size:           8
        .value_kind:     global_buffer
      - .address_space:  global
        .offset:         96
        .size:           8
        .value_kind:     global_buffer
    .group_segment_fixed_size: 20480
    .kernarg_segment_align: 8
    .kernarg_segment_size: 104
    .language:       OpenCL C
    .language_version:
      - 2
      - 0
    .max_flat_workgroup_size: 128
    .name:           bluestein_single_fwd_len640_dim1_dp_op_CI_CI
    .private_segment_fixed_size: 0
    .sgpr_count:     26
    .sgpr_spill_count: 0
    .symbol:         bluestein_single_fwd_len640_dim1_dp_op_CI_CI.kd
    .uniform_work_group_size: 1
    .uses_dynamic_stack: false
    .vgpr_count:     250
    .vgpr_spill_count: 0
    .wavefront_size: 64
amdhsa.target:   amdgcn-amd-amdhsa--gfx906
amdhsa.version:
  - 1
  - 2
...

	.end_amdgpu_metadata
